;; amdgpu-corpus repo=ROCm/aiter kind=harvested arch=n/a opt=n/a

/root/src/amdgpu-assembly/repos/ROCm__aiter/hsa/gfx950/fmha_v3_bwd/bwd_hd64_fp16_causal_a32_pssk_group.co:	file format elf64-amdgpu

Disassembly of section .text:

0000000000004000 <_ZN5aiter50fmha_bwd_hd64_fp16_causal_a32_pssk_group_recompileE>:
	s_and_b32 s1, s1, 0xffff                                   // 000000004000: 8601FF01 0000FFFF
	s_load_dwordx2 s[32:33], s[0:1], 0x0                       // 000000004008: C0060800 00000000
	s_load_dwordx2 s[36:37], s[0:1], 0x10                      // 000000004010: C0060900 00000010
	s_load_dwordx2 s[40:41], s[0:1], 0x20                      // 000000004018: C0060A00 00000020
	s_load_dwordx2 s[8:9], s[0:1], 0x30                        // 000000004020: C0060200 00000030
	s_load_dwordx2 s[12:13], s[0:1], 0x40                      // 000000004028: C0060300 00000040
	s_load_dwordx2 s[16:17], s[0:1], 0x50                      // 000000004030: C0060400 00000050
	s_load_dwordx2 s[20:21], s[0:1], 0x60                      // 000000004038: C0060500 00000060
	s_load_dwordx2 s[24:25], s[0:1], 0x70                      // 000000004040: C0060600 00000070
	s_load_dwordx2 s[28:29], s[0:1], 0x80                      // 000000004048: C0060700 00000080
	s_load_dword s47, s[0:1], 0x90                             // 000000004050: C0020BC0 00000090
	s_load_dword s48, s[0:1], 0xa0                             // 000000004058: C0020C00 000000A0
	s_load_dword s78, s[0:1], 0xd0                             // 000000004060: C0021380 000000D0
	s_load_dword s5, s[0:1], 0xf0                              // 000000004068: C0020140 000000F0
	s_load_dword s44, s[0:1], 0x100                            // 000000004070: C0020B00 00000100
	s_load_dword s79, s[0:1], 0x110                            // 000000004078: C00213C0 00000110
	s_load_dword s6, s[0:1], 0x130                             // 000000004080: C0020180 00000130
	s_load_dword s52, s[0:1], 0x140                            // 000000004088: C0020D00 00000140
	s_load_dword s50, s[0:1], 0x150                            // 000000004090: C0020C80 00000150
	s_load_dword s80, s[0:1], 0x190                            // 000000004098: C0021400 00000190
	s_load_dword s7, s[0:1], 0x1b0                             // 0000000040A0: C00201C0 000001B0
	s_load_dword s81, s[0:1], 0x1c0                            // 0000000040A8: C0021440 000001C0
	s_load_dword s51, s[0:1], 0x1e0                            // 0000000040B0: C0020CC0 000001E0
	s_load_dword s82, s[0:1], 0x1f0                            // 0000000040B8: C0021480 000001F0
	s_load_dword s83, s[0:1], 0x210                            // 0000000040C0: C00214C0 00000210
	s_load_dword s53, s[0:1], 0x230                            // 0000000040C8: C0020D40 00000230
	s_load_dword s49, s[0:1], 0x240                            // 0000000040D0: C0020C40 00000240
	s_load_dwordx2 s[88:89], s[0:1], 0x250                     // 0000000040D8: C0061600 00000250
	s_load_dwordx2 s[92:93], s[0:1], 0x260                     // 0000000040E0: C0061700 00000260
	s_load_dwordx2 s[96:97], s[0:1], 0x270                     // 0000000040E8: C0061800 00000270
	s_load_dwordx2 s[100:101], s[0:1], 0x280                   // 0000000040F0: C0061900 00000280
	v_lshrrev_b32_e32 v1, 10, v0                               // 0000000040F8: 2002008A
	v_lshrrev_b32_e32 v2, 10, v1                               // 0000000040FC: 2004028A
	v_and_b32_e32 v2, 0x3ff, v2                                // 000000004100: 260404FF 000003FF
	v_and_b32_e32 v1, 0x3ff, v1                                // 000000004108: 260202FF 000003FF
	v_and_b32_e32 v0, 0x3ff, v0                                // 000000004110: 260000FF 000003FF
	v_lshrrev_b32_e32 v3, 6, v0                                // 000000004118: 20060086
	v_and_b32_e32 v0, 63, v0                                   // 00000000411C: 260000BF
	s_mov_b32 s2, s2                                           // 000000004120: BE820002
	s_mov_b32 s3, s3                                           // 000000004124: BE830003
	s_mov_b32 s4, s4                                           // 000000004128: BE840004
	v_readfirstlane_b32 s46, v3                                // 00000000412C: 7E5C0503
	s_waitcnt lgkmcnt(0)                                       // 000000004130: BF8CC07F
	s_mul_i32 s60, s4, 4                                       // 000000004134: 923C8404
	s_add_u32 s88, s60, s88                                    // 000000004138: 8058583C
	s_addc_u32 s89, 0, s89                                     // 00000000413C: 82595980
	s_load_dwordx2 s[84:85], s[88:89], 0x0                     // 000000004140: C006152C 00000000
	s_add_u32 s96, s60, s96                                    // 000000004148: 8060603C
	s_addc_u32 s97, 0, s97                                     // 00000000414C: 82616180
	s_load_dword s90, s[96:97], 0x0                            // 000000004150: C00216B0 00000000
	s_add_u32 s92, s60, s92                                    // 000000004158: 805C5C3C
	s_addc_u32 s93, 0, s93                                     // 00000000415C: 825D5D80
	s_load_dwordx2 s[86:87], s[92:93], 0x0                     // 000000004160: C00615AE 00000000
	s_add_u32 s100, s60, s100                                  // 000000004168: 8064643C
	s_addc_u32 s101, 0, s101                                   // 00000000416C: 82656580
	s_load_dword s94, s[100:101], 0x0                          // 000000004170: C00217B2 00000000
	s_mov_b32 s11, 0x20000                                     // 000000004178: BE8B00FF 00020000
	s_mov_b32 s15, 0x20000                                     // 000000004180: BE8F00FF 00020000
	s_mov_b32 s19, 0x20000                                     // 000000004188: BE9300FF 00020000
	s_mov_b32 s23, 0x20000                                     // 000000004190: BE9700FF 00020000
	s_mov_b32 s27, 0x20000                                     // 000000004198: BE9B00FF 00020000
	s_mov_b32 s31, 0x20000                                     // 0000000041A0: BE9F00FF 00020000
	s_mov_b32 s35, 0x20000                                     // 0000000041A8: BEA300FF 00020000
	s_mov_b32 s39, 0x20000                                     // 0000000041B0: BEA700FF 00020000
	s_mov_b32 s43, 0x20000                                     // 0000000041B8: BEAB00FF 00020000
	s_and_b32 s9, s9, 0xffff                                   // 0000000041C0: 8609FF09 0000FFFF
	s_and_b32 s13, s13, 0xffff                                 // 0000000041C8: 860DFF0D 0000FFFF
	s_and_b32 s17, s17, 0xffff                                 // 0000000041D0: 8611FF11 0000FFFF
	s_and_b32 s21, s21, 0xffff                                 // 0000000041D8: 8615FF15 0000FFFF
	s_and_b32 s25, s25, 0xffff                                 // 0000000041E0: 8619FF19 0000FFFF
	s_and_b32 s29, s29, 0xffff                                 // 0000000041E8: 861DFF1D 0000FFFF
	s_and_b32 s33, s33, 0xffff                                 // 0000000041F0: 8621FF21 0000FFFF
	s_and_b32 s37, s37, 0xffff                                 // 0000000041F8: 8625FF25 0000FFFF
	s_and_b32 s41, s41, 0xffff                                 // 000000004200: 8629FF29 0000FFFF
	s_or_b32 s9, s9, 0x40000                                   // 000000004208: 8709FF09 00040000
	s_or_b32 s13, s13, 0x40000                                 // 000000004210: 870DFF0D 00040000
	s_or_b32 s17, s17, 0x40000                                 // 000000004218: 8711FF11 00040000
	s_or_b32 s21, s21, 0x40000                                 // 000000004220: 8715FF15 00040000
	s_or_b32 s25, s25, 0x40000                                 // 000000004228: 8719FF19 00040000
	s_or_b32 s29, s29, 0x40000                                 // 000000004230: 871DFF1D 00040000
	s_or_b32 s33, s33, 0x40000                                 // 000000004238: 8721FF21 00040000
	s_or_b32 s37, s37, 0x40000                                 // 000000004240: 8725FF25 00040000
	s_or_b32 s41, s41, 0x40000                                 // 000000004248: 8729FF29 00040000
	v_accvgpr_write_b32 a159, 0                                // 000000004250: D3D9409F 18000080
	v_mov_b32_e32 v231, 0                                      // 000000004258: 7FCE0280
	s_mov_b32 s71, s3                                          // 00000000425C: BEC70003
	v_cvt_f32_u32_e32 v32, s44                                 // 000000004260: 7E400C2C
	s_sub_i32 s60, 0, s44                                      // 000000004264: 81BC2C80
	v_rcp_iflag_f32_e32 v32, v32                               // 000000004268: 7E404720
	s_nop 0                                                    // 00000000426C: BF800000
	v_mul_f32_e32 v32, 0x4f7ffffe, v32                         // 000000004270: 0A4040FF 4F7FFFFE
	v_cvt_u32_f32_e32 v32, v32                                 // 000000004278: 7E400F20
	v_mul_lo_u32 v33, s60, v32                                 // 00000000427C: D2850021 0002403C
	v_mul_hi_u32 v33, v32, v33                                 // 000000004284: D2860021 00024320
	v_add_u32_e32 v32, v32, v33                                // 00000000428C: 68404320
	v_mul_hi_u32 v32, s71, v32                                 // 000000004290: D2860020 00024047
	v_mul_lo_u32 v33, v32, s44                                 // 000000004298: D2850021 00005920
	v_sub_u32_e32 v35, s71, v33                                // 0000000042A0: 6A464247
	v_add_u32_e32 v34, 1, v32                                  // 0000000042A4: 68444081
	v_cmp_le_u32_e32 vcc, s44, v35                             // 0000000042A8: 7D96462C
	v_subrev_u32_e32 v33, s44, v35                             // 0000000042AC: 6C42462C
	s_nop 0                                                    // 0000000042B0: BF800000
	v_cndmask_b32_e32 v32, v32, v34, vcc                       // 0000000042B4: 00404520
	v_cndmask_b32_e32 v35, v35, v33, vcc                       // 0000000042B8: 00464323
	v_add_u32_e32 v33, 1, v32                                  // 0000000042BC: 68424081
	v_cmp_le_u32_e32 vcc, s44, v35                             // 0000000042C0: 7D96462C
	s_nop 1                                                    // 0000000042C4: BF800001
	v_cndmask_b32_e32 v35, v32, v33, vcc                       // 0000000042C8: 00464320
	s_nop 3                                                    // 0000000042CC: BF800003
	v_readfirstlane_b32 s45, v35                               // 0000000042D0: 7E5A0523
	s_nop 3                                                    // 0000000042D4: BF800003
	s_waitcnt lgkmcnt(0)                                       // 0000000042D8: BF8CC07F
	s_mul_i32 s61, s2, 0x180                                   // 0000000042DC: 923DFF02 00000180
	s_sub_i32 s87, s87, s86                                    // 0000000042E4: 81D75657
	s_mov_b32 s86, s94                                         // 0000000042E8: BED6005E
	s_sub_i32 s85, s85, s84                                    // 0000000042EC: 81D55455
	s_mov_b32 s84, s90                                         // 0000000042F0: BED4005A
	s_cmp_gt_i32 s85, 0                                        // 0000000042F4: BF028055
	s_cbranch_scc0 label_1960                                  // 0000000042F8: BF84187D
	s_mov_b32 s59, 0                                           // 0000000042FC: BEBB0080
	s_mov_b32 s58, s85                                         // 000000004300: BEBA0055
	s_cmp_ge_i32 s61, s87                                      // 000000004304: BF03573D
	s_cbranch_scc1 label_1960                                  // 000000004308: BF851879
	s_mul_i32 s61, s45, s79                                    // 00000000430C: 923D4F2D
	s_mov_b32 s54, s61                                         // 000000004310: BEB6003D
	s_add_u32 s12, s54, s12                                    // 000000004314: 800C0C36
	s_addc_u32 s13, 0, s13                                     // 000000004318: 820D0D80
	s_mul_i32 s60, s86, s6                                     // 00000000431C: 923C0656
	s_mul_hi_u32 s61, s86, s6                                  // 000000004320: 963D0656
	s_and_b32 s61, s61, 0xffff                                 // 000000004324: 863DFF3D 0000FFFF
	s_add_u32 s12, s12, s60                                    // 00000000432C: 800C3C0C
	s_addc_u32 s13, s13, s61                                   // 000000004330: 820D3D0D
	s_mul_i32 s61, s45, s80                                    // 000000004334: 923D502D
	s_mov_b32 s54, s61                                         // 000000004338: BEB6003D
	s_add_u32 s16, s54, s16                                    // 00000000433C: 80101036
	s_addc_u32 s17, 0, s17                                     // 000000004340: 82111180
	s_mul_i32 s60, s86, s7                                     // 000000004344: 923C0756
	s_mul_hi_u32 s61, s86, s7                                  // 000000004348: 963D0756
	s_and_b32 s61, s61, 0xffff                                 // 00000000434C: 863DFF3D 0000FFFF
	s_add_u32 s16, s16, s60                                    // 000000004354: 80103C10
	s_addc_u32 s17, s17, s61                                   // 000000004358: 82113D11
	s_mul_i32 s61, s3, s78                                     // 00000000435C: 923D4E03
	s_mov_b32 s55, s61                                         // 000000004360: BEB7003D
	s_add_u32 s8, s55, s8                                      // 000000004364: 80080837
	s_addc_u32 s9, 0, s9                                       // 000000004368: 82090980
	s_mul_i32 s60, s84, s5                                     // 00000000436C: 923C0554
	s_mul_hi_u32 s61, s84, s5                                  // 000000004370: 963D0554
	s_and_b32 s61, s61, 0xffff                                 // 000000004374: 863DFF3D 0000FFFF
	s_add_u32 s8, s8, s60                                      // 00000000437C: 80083C08
	s_addc_u32 s9, s9, s61                                     // 000000004380: 82093D09
	s_mul_i32 s61, s3, s81                                     // 000000004384: 923D5103
	s_mov_b32 s56, s61                                         // 000000004388: BEB8003D
	s_add_u32 s20, s56, s20                                    // 00000000438C: 80141438
	s_addc_u32 s21, 0, s21                                     // 000000004390: 82151580
	s_mul_i32 s60, s84, s51                                    // 000000004394: 923C3354
	s_mul_hi_u32 s61, s84, s51                                 // 000000004398: 963D3354
	s_and_b32 s61, s61, 0xffff                                 // 00000000439C: 863DFF3D 0000FFFF
	s_add_u32 s20, s20, s60                                    // 0000000043A4: 80143C14
	s_addc_u32 s21, s21, s61                                   // 0000000043A8: 82153D15
	s_mul_i32 s62, 4, s84                                      // 0000000043AC: 923E5484
	s_mul_i32 s61, s3, s49                                     // 0000000043B0: 923D3103
	s_add_u32 s65, s61, s62                                    // 0000000043B4: 80413E3D
	s_mov_b32 s26, s85                                         // 0000000043B8: BE9A0055
	s_mov_b32 s30, s85                                         // 0000000043BC: BE9E0055
	s_add_u32 s24, s65, s24                                    // 0000000043C0: 80181841
	s_addc_u32 s25, 0, s25                                     // 0000000043C4: 82191980
	s_add_u32 s28, s65, s28                                    // 0000000043C8: 801C1C41
	s_addc_u32 s29, 0, s29                                     // 0000000043CC: 821D1D80
	s_mul_i32 s61, s3, s82                                     // 0000000043D0: 923D5203
	s_mul_i32 s62, s86, s52                                    // 0000000043D4: 923E3456
	s_add_u32 s60, s61, s62                                    // 0000000043D8: 803C3E3D
	s_mul_hi_u32 s61, s86, s52                                 // 0000000043DC: 963D3456
	s_and_b32 s61, s61, 0xffff                                 // 0000000043E0: 863DFF3D 0000FFFF
	s_add_u32 s36, s60, s36                                    // 0000000043E8: 8024243C
	s_addc_u32 s37, s61, s37                                   // 0000000043EC: 8225253D
	s_mul_i32 s60, s87, s52                                    // 0000000043F0: 923C3457
	s_lshr_b32 s60, s60, 2                                     // 0000000043F4: 8F3C823C
	s_mov_b32 s38, s60                                         // 0000000043F8: BEA6003C
	s_mul_i32 s61, s3, s83                                     // 0000000043FC: 923D5303
	s_mul_i32 s62, s86, s53                                    // 000000004400: 923E3556
	s_add_u32 s60, s61, s62                                    // 000000004404: 803C3E3D
	s_mul_hi_u32 s61, s86, s53                                 // 000000004408: 963D3556
	s_and_b32 s61, s61, 0xffff                                 // 00000000440C: 863DFF3D 0000FFFF
	s_add_u32 s40, s60, s40                                    // 000000004414: 8028283C
	s_addc_u32 s41, s61, s41                                   // 000000004418: 8229293D
	s_mul_i32 s60, s87, s53                                    // 00000000441C: 923C3557
	s_lshr_b32 s60, s60, 2                                     // 000000004420: 8F3C823C
	s_mov_b32 s42, s60                                         // 000000004424: BEAA003C
	s_mul_i32 s60, 64, s65                                     // 000000004428: 923C41C0
	s_mul_hi_u32 s61, 64, s65                                  // 00000000442C: 963D41C0
	s_and_b32 s61, s61, 0xffff                                 // 000000004430: 863DFF3D 0000FFFF
	s_add_u32 s32, s60, s32                                    // 000000004438: 8020203C
	s_addc_u32 s33, s61, s33                                   // 00000000443C: 8221213D
	s_mul_i32 s60, 64, s85                                     // 000000004440: 923C55C0
	s_mov_b32 s34, s60                                         // 000000004444: BEA2003C
	s_mov_b32 s90, s8                                          // 000000004448: BEDA0008
	s_mov_b32 s94, s12                                         // 00000000444C: BEDE000C
	s_mov_b32 s96, s16                                         // 000000004450: BEE00010
	s_mov_b32 s98, s20                                         // 000000004454: BEE20014
	s_mov_b32 s91, s9                                          // 000000004458: BEDB0009
	s_mov_b32 s95, s13                                         // 00000000445C: BEDF000D
	s_mov_b32 s97, s17                                         // 000000004460: BEE10011
	s_mov_b32 s99, s21                                         // 000000004464: BEE30015
	s_add_u32 s71, 0xbf, s87                                   // 000000004468: 804757FF 000000BF
	s_mov_b32 s74, 0xc0                                        // 000000004470: BECA00FF 000000C0
	v_cvt_f32_u32_e32 v32, s74                                 // 000000004478: 7E400C4A
	s_sub_i32 s60, 0, s74                                      // 00000000447C: 81BC4A80
	v_rcp_iflag_f32_e32 v32, v32                               // 000000004480: 7E404720
	s_nop 0                                                    // 000000004484: BF800000
	v_mul_f32_e32 v32, 0x4f7ffffe, v32                         // 000000004488: 0A4040FF 4F7FFFFE
	v_cvt_u32_f32_e32 v32, v32                                 // 000000004490: 7E400F20
	v_mul_lo_u32 v33, s60, v32                                 // 000000004494: D2850021 0002403C
	v_mul_hi_u32 v33, v32, v33                                 // 00000000449C: D2860021 00024320
	v_add_u32_e32 v32, v32, v33                                // 0000000044A4: 68404320
	v_mul_hi_u32 v32, s71, v32                                 // 0000000044A8: D2860020 00024047
	v_mul_lo_u32 v33, v32, s74                                 // 0000000044B0: D2850021 00009520
	v_sub_u32_e32 v35, s71, v33                                // 0000000044B8: 6A464247
	v_add_u32_e32 v34, 1, v32                                  // 0000000044BC: 68444081
	v_cmp_le_u32_e32 vcc, s74, v35                             // 0000000044C0: 7D96464A
	v_subrev_u32_e32 v33, s74, v35                             // 0000000044C4: 6C42464A
	s_nop 0                                                    // 0000000044C8: BF800000
	v_cndmask_b32_e32 v32, v32, v34, vcc                       // 0000000044CC: 00404520
	v_cndmask_b32_e32 v35, v35, v33, vcc                       // 0000000044D0: 00464323
	v_add_u32_e32 v33, 1, v32                                  // 0000000044D4: 68424081
	v_cmp_le_u32_e32 vcc, s74, v35                             // 0000000044D8: 7D96464A
	s_nop 1                                                    // 0000000044DC: BF800001
	v_cndmask_b32_e32 v35, v32, v33, vcc                       // 0000000044E0: 00464320
	s_nop 3                                                    // 0000000044E4: BF800003
	v_readfirstlane_b32 s77, v35                               // 0000000044E8: 7E9A0523
	s_nop 3                                                    // 0000000044EC: BF800003
	v_mov_b32_e32 v32, s47                                     // 0000000044F0: 7E40022F
	v_mul_f32_e32 v32, s48, v32                                // 0000000044F4: 0A404030
	s_mov_b32 s63, 0x5040100                                   // 0000000044F8: BEBF00FF 05040100
	s_mov_b32 s64, 0x7060302                                   // 000000004500: BEC000FF 07060302
	v_readfirstlane_b32 s57, v32                               // 000000004508: 7E720520
	v_mov_b32_e32 v34, 0x3020706                               // 00000000450C: 7E4402FF 03020706
	v_mov_b32_e32 v32, s63                                     // 000000004514: 7E40023F
	v_and_b32_e32 v33, 1, v0                                   // 000000004518: 26420081
	v_cmp_eq_u32_e32 vcc, 1, v33                               // 00000000451C: 7D944281
	s_mov_b32 s67, 0x800                                       // 000000004520: BEC300FF 00000800
	v_cndmask_b32_e32 v17, v32, v34, vcc                       // 000000004528: 00224520
	s_cmp_lt_u32 s46, 2                                        // 00000000452C: BF0A822E
	s_cselect_b32 s24, s24, s28                                // 000000004530: 85181C18
	s_cselect_b32 s25, s25, s29                                // 000000004534: 85191D19
	s_cselect_b32 s26, s26, s30                                // 000000004538: 851A1E1A
	s_cselect_b32 s27, s27, s31                                // 00000000453C: 851B1F1B
	s_lshr_b32 s60, s46, 1                                     // 000000004540: 8F3C812E
	s_lshl_b32 s60, s60, 8                                     // 000000004544: 8E3C883C
	s_add_u32 s78, 0x9a00, s60                                 // 000000004548: 804E3CFF 00009A00
	s_add_u32 s79, 0x200, s78                                  // 000000004550: 804F4EFF 00000200
	s_mov_b32 m0, s78                                          // 000000004558: BEFC004E
	s_mov_b32 s75, 0                                           // 00000000455C: BECB0080
	s_mov_b32 s76, 1                                           // 000000004560: BECC0081
	s_lshl_b32 s60, s2, 1                                      // 000000004564: 8E3C8102
	s_add_u32 s60, 1, s60                                      // 000000004568: 803C3C81
	s_cmp_ge_i32 s60, s77                                      // 00000000456C: BF034D3C
	s_cselect_b32 s76, s76, 2                                  // 000000004570: 854C824C

0000000000004574 <label_015D>:
	s_mov_b32 m0, s78                                          // 000000004574: BEFC004E
	s_mov_b32 s66, 0                                           // 000000004578: BEC20080
	v_mov_b32_e32 v178, 0xff800000                             // 00000000457C: 7F6402FF FF800000
	s_mov_b32 s74, 0                                           // 000000004584: BECA0080
	s_mul_i32 s68, 8, s5                                       // 000000004588: 92440588
	s_mul_i32 s100, 8, s51                                     // 00000000458C: 92643388
	s_mov_b32 s69, 32                                          // 000000004590: BEC500A0
	s_mul_i32 s59, 0xc0, s2                                    // 000000004594: 923B02FF 000000C0
	s_mul_i32 s54, s6, s59                                     // 00000000459C: 92363B06
	s_sub_i32 s61, s87, s59                                    // 0000000045A0: 81BD3B57
	s_mul_i32 s62, s6, s61                                     // 0000000045A4: 923E3D06
	s_lshr_b32 s62, s62, 2                                     // 0000000045A8: 8F3E823E
	s_mov_b32 s14, s62                                         // 0000000045AC: BE8E003E
	s_add_u32 s12, s54, s94                                    // 0000000045B0: 800C5E36
	s_addc_u32 s13, 0, s95                                     // 0000000045B4: 820D5F80
	s_mul_i32 s54, s7, s59                                     // 0000000045B8: 92363B07
	s_mul_i32 s62, s7, s61                                     // 0000000045BC: 923E3D07
	s_lshr_b32 s62, s62, 2                                     // 0000000045C0: 8F3E823E
	s_mov_b32 s18, s62                                         // 0000000045C4: BE92003E
	s_add_u32 s16, s54, s96                                    // 0000000045C8: 80106036
	s_addc_u32 s17, 0, s97                                     // 0000000045CC: 82116180
	s_mov_b32 s71, s6                                          // 0000000045D0: BEC70006
	v_lshrrev_b32_e32 v32, 4, v0                               // 0000000045D4: 20400084
	v_and_b32_e32 v33, 1, v32                                  // 0000000045D8: 26424081
	v_lshlrev_b32_e32 v33, 1, v33                              // 0000000045DC: 24424281
	v_mul_i32_i24_e32 v33, s71, v33                            // 0000000045E0: 0C424247
	v_and_b32_e32 v34, 2, v32                                  // 0000000045E4: 26444082
	v_lshlrev_b32_e32 v34, 5, v34                              // 0000000045E8: 24444485
	v_add_u32_e32 v33, v34, v33                                // 0000000045EC: 68424322
	v_and_b32_e32 v32, 15, v0                                  // 0000000045F0: 2640008F
	v_lshlrev_b32_e32 v32, 2, v32                              // 0000000045F4: 24404082
	v_add_u32_e32 v1, v32, v33                                 // 0000000045F8: 68024320
	s_mul_i32 s60, s46, s71                                    // 0000000045FC: 923C472E
	s_mul_i32 s60, s60, 4                                      // 000000004600: 923C843C
	v_add_u32_e32 v1, s60, v1                                  // 000000004604: 6802023C
	v_add_u32_e32 v2, s71, v1                                  // 000000004608: 68040247
	s_mul_i32 s60, 16, s71                                     // 00000000460C: 923C4790
	v_add_u32_e32 v3, s60, v1                                  // 000000004610: 6806023C
	v_add_u32_e32 v4, s60, v2                                  // 000000004614: 6808043C
	s_mov_b32 s71, s7                                          // 000000004618: BEC70007
	v_lshrrev_b32_e32 v32, 4, v0                               // 00000000461C: 20400084
	v_and_b32_e32 v33, 1, v32                                  // 000000004620: 26424081
	v_lshlrev_b32_e32 v33, 1, v33                              // 000000004624: 24424281
	v_mul_i32_i24_e32 v33, s71, v33                            // 000000004628: 0C424247
	v_and_b32_e32 v34, 2, v32                                  // 00000000462C: 26444082
	v_lshlrev_b32_e32 v34, 5, v34                              // 000000004630: 24444485
	v_add_u32_e32 v33, v34, v33                                // 000000004634: 68424322
	v_and_b32_e32 v32, 15, v0                                  // 000000004638: 2640008F
	v_lshlrev_b32_e32 v32, 2, v32                              // 00000000463C: 24404082
	v_add_u32_e32 v228, v32, v33                               // 000000004640: 69C84320
	s_mul_i32 s60, s46, s71                                    // 000000004644: 923C472E
	s_mul_i32 s60, s60, 4                                      // 000000004648: 923C843C
	v_add_u32_e32 v228, s60, v228                              // 00000000464C: 69C9C83C
	v_add_u32_e32 v229, s71, v228                              // 000000004650: 69CBC847
	s_mul_i32 s60, 16, s71                                     // 000000004654: 923C4790
	v_add_u32_e32 v230, s60, v228                              // 000000004658: 69CDC83C
	v_add_u32_e32 v231, s60, v229                              // 00000000465C: 69CFCA3C
	v_lshrrev_b32_e32 v1, 2, v1                                // 000000004660: 20020282
	v_lshrrev_b32_e32 v2, 2, v2                                // 000000004664: 20040482
	v_lshrrev_b32_e32 v228, 2, v228                            // 000000004668: 21C9C882
	v_lshrrev_b32_e32 v229, 2, v229                            // 00000000466C: 21CBCA82
	s_mov_b32 s70, s52                                         // 000000004670: BEC60034
	v_lshrrev_b32_e32 v32, 3, v0                               // 000000004674: 20400083
	v_mul_i32_i24_e32 v5, s70, v32                             // 000000004678: 0C0A4046
	v_lshrrev_b32_e32 v5, 2, v5                                // 00000000467C: 200A0A82
	v_and_b32_e32 v32, 7, v0                                   // 000000004680: 26400087
	v_lshlrev_b32_e32 v33, 2, v32                              // 000000004684: 24424082
	v_add_u32_e32 v5, v33, v5                                  // 000000004688: 680A0B21
	s_mul_i32 s60, 16, s70                                     // 00000000468C: 923C4690
	s_mul_i32 s60, s46, s60                                    // 000000004690: 923C3C2E
	v_lshlrev_b32_e32 v5, 2, v5                                // 000000004694: 240A0A82
	v_add_u32_e32 v5, s60, v5                                  // 000000004698: 680A0A3C
	s_mul_i32 s60, s52, s59                                    // 00000000469C: 923C3B34
	v_add_u32_e32 v5, s60, v5                                  // 0000000046A0: 680A0A3C
	v_lshrrev_b32_e32 v5, 2, v5                                // 0000000046A4: 200A0A82
	s_mov_b32 s70, s53                                         // 0000000046A8: BEC60035
	v_lshrrev_b32_e32 v32, 3, v0                               // 0000000046AC: 20400083
	v_mul_i32_i24_e32 v10, s70, v32                            // 0000000046B0: 0C144046
	v_lshrrev_b32_e32 v10, 2, v10                              // 0000000046B4: 20141482
	v_and_b32_e32 v32, 7, v0                                   // 0000000046B8: 26400087
	v_lshlrev_b32_e32 v33, 2, v32                              // 0000000046BC: 24424082
	v_add_u32_e32 v10, v33, v10                                // 0000000046C0: 68141521
	s_mul_i32 s60, 16, s70                                     // 0000000046C4: 923C4690
	s_mul_i32 s60, s46, s60                                    // 0000000046C8: 923C3C2E
	v_lshlrev_b32_e32 v10, 2, v10                              // 0000000046CC: 24141482
	v_add_u32_e32 v10, s60, v10                                // 0000000046D0: 6814143C
	s_mul_i32 s60, s53, s59                                    // 0000000046D4: 923C3B35
	v_add_u32_e32 v10, s60, v10                                // 0000000046D8: 6814143C
	v_lshrrev_b32_e32 v10, 2, v10                              // 0000000046DC: 20141482
	s_cmp_ge_i32 s59, s85                                      // 0000000046E0: BF03553B
	s_cselect_b32 s59, s85, s59                                // 0000000046E4: 853B3B55
	s_add_u32 s73, 32, s59                                     // 0000000046E8: 80493BA0
	s_mul_i32 s55, s5, s59                                     // 0000000046EC: 92373B05
	s_sub_i32 s61, s85, s59                                    // 0000000046F0: 81BD3B55
	s_mul_i32 s62, s5, s61                                     // 0000000046F4: 923E3D05
	s_lshr_b32 s62, s62, 2                                     // 0000000046F8: 8F3E823E
	s_mov_b32 s10, s62                                         // 0000000046FC: BE8A003E
	s_add_u32 s8, s55, s90                                     // 000000004700: 80085A37
	s_addc_u32 s9, 0, s91                                      // 000000004704: 82095B80
	s_mul_i32 s56, s51, s59                                    // 000000004708: 92383B33
	s_mul_i32 s62, s51, s61                                    // 00000000470C: 923E3D33
	s_lshr_b32 s62, s62, 2                                     // 000000004710: 8F3E823E
	s_mov_b32 s22, s62                                         // 000000004714: BE96003E
	s_add_u32 s20, s56, s98                                    // 000000004718: 80146238
	s_addc_u32 s21, 0, s99                                     // 00000000471C: 82156380
	s_mul_i32 s65, s59, 4                                      // 000000004720: 9241843B
	v_and_b32_e32 v11, 31, v0                                  // 000000004724: 2616009F
	v_lshlrev_b32_e32 v11, 2, v11                              // 000000004728: 24161682
	v_add_u32_e32 v11, s65, v11                                // 00000000472C: 68161641
	v_lshrrev_b32_e32 v11, 2, v11                              // 000000004730: 20161682
	v_lshrrev_b32_e32 v32, 5, v0                               // 000000004734: 20400085
	v_mul_i32_i24_e32 v6, 0x80, v32                            // 000000004738: 0C0C40FF 00000080
	v_and_b32_e32 v32, 31, v0                                  // 000000004740: 2640009F
	v_add_u32_e32 v6, v32, v6                                  // 000000004744: 680C0D20
	s_mul_i32 s60, s46, 0x100                                  // 000000004748: 923CFF2E 00000100
	v_add_u32_e32 v6, s60, v6                                  // 000000004750: 680C0C3C
	v_lshlrev_b32_e32 v6, 2, v6                                // 000000004754: 240C0C82
	v_add_u32_e32 v7, 0x100, v6                                // 000000004758: 680E0CFF 00000100
	v_add_u32_e32 v8, 0x1000, v6                               // 000000004760: 68100CFF 00001000
	v_add_u32_e32 v9, 0x1000, v7                               // 000000004768: 68120EFF 00001000
	s_mul_i32 s60, 64, s65                                     // 000000004770: 923C41C0
	v_add_u32_e32 v6, s60, v6                                  // 000000004774: 680C0C3C
	v_lshrrev_b32_e32 v6, 2, v6                                // 000000004778: 200C0C82
	v_add_u32_e32 v7, s60, v7                                  // 00000000477C: 680E0E3C
	v_lshrrev_b32_e32 v7, 2, v7                                // 000000004780: 200E0E82
	v_add_u32_e32 v8, s60, v8                                  // 000000004784: 6810103C
	v_lshrrev_b32_e32 v8, 2, v8                                // 000000004788: 20101082
	v_add_u32_e32 v9, s60, v9                                  // 00000000478C: 6812123C
	v_lshrrev_b32_e32 v9, 2, v9                                // 000000004790: 20121282
	s_mul_i32 s60, 3, s2                                       // 000000004794: 923C0283
	s_add_u32 s61, s87, 63                                     // 000000004798: 803DBF57
	s_lshr_b32 s61, s61, 6                                     // 00000000479C: 8F3D863D
	s_sub_i32 s72, s61, s60                                    // 0000000047A0: 81C83C3D
	s_cmp_lt_i32 s72, 3                                        // 0000000047A4: BF048348
	s_cselect_b32 s72, s72, 3                                  // 0000000047A8: 85488348
	s_mul_i32 s60, 0xc0, s2                                    // 0000000047AC: 923C02FF 000000C0
	s_sub_i32 s84, s87, s60                                    // 0000000047B4: 81D43C57
	v_and_b32_e32 v32, 31, v0                                  // 0000000047B8: 2640009F
	v_lshrrev_b32_e32 v32, 1, v32                              // 0000000047BC: 20404081
	v_and_b32_e32 v33, 1, v32                                  // 0000000047C0: 26424081
	v_lshlrev_b32_e32 v33, 4, v33                              // 0000000047C4: 24424284
	v_and_b32_e32 v34, 2, v32                                  // 0000000047C8: 26444082
	v_lshlrev_b32_e32 v34, 2, v34                              // 0000000047CC: 24444482
	v_add_u32_e32 v33, v34, v33                                // 0000000047D0: 68424322
	v_and_b32_e32 v34, 12, v32                                 // 0000000047D4: 2644408C
	v_lshrrev_b32_e32 v34, 1, v34                              // 0000000047D8: 20444481
	v_add_u32_e32 v33, v34, v33                                // 0000000047DC: 68424322
	v_lshrrev_b32_e32 v32, 5, v0                               // 0000000047E0: 20400085
	v_mul_i32_i24_e32 v34, 0x80, v32                           // 0000000047E4: 0C4440FF 00000080
	v_add_u32_e32 v33, v34, v33                                // 0000000047EC: 68424322
	v_and_b32_e32 v34, 1, v0                                   // 0000000047F0: 26440081
	v_add_u32_e32 v13, v34, v33                                // 0000000047F4: 681A4322
	s_mul_i32 s60, s46, 32                                     // 0000000047F8: 923CA02E
	v_add_u32_e32 v13, s60, v13                                // 0000000047FC: 681A1A3C
	v_lshlrev_b32_e32 v13, 2, v13                              // 000000004800: 241A1A82
	v_lshrrev_b32_e32 v32, 4, v0                               // 000000004804: 20400084
	v_and_b32_e32 v33, 1, v32                                  // 000000004808: 26424081
	v_lshlrev_b32_e32 v33, 4, v33                              // 00000000480C: 24424284
	v_and_b32_e32 v34, 2, v32                                  // 000000004810: 26444082
	v_mul_i32_i24_e32 v34, 4, v34                              // 000000004814: 0C444484
	v_add_u32_e32 v33, v34, v33                                // 000000004818: 68424322
	v_and_b32_e32 v32, 15, v0                                  // 00000000481C: 2640008F
	v_lshrrev_b32_e32 v34, 2, v32                              // 000000004820: 20444082
	v_lshlrev_b32_e32 v34, 5, v34                              // 000000004824: 24444485
	v_add_u32_e32 v33, v34, v33                                // 000000004828: 68424322
	v_and_b32_e32 v32, 3, v0                                   // 00000000482C: 26400083
	v_and_b32_e32 v34, 1, v32                                  // 000000004830: 26444081
	v_mul_i32_i24_e32 v34, 0x108, v34                          // 000000004834: 0C4444FF 00000108
	v_add_u32_e32 v33, v34, v33                                // 00000000483C: 68424322
	v_and_b32_e32 v34, 2, v32                                  // 000000004840: 26444082
	v_lshlrev_b32_e32 v34, 1, v34                              // 000000004844: 24444481
	v_add_u32_e32 v12, v34, v33                                // 000000004848: 68184322
	v_lshlrev_b32_e32 v12, 2, v12                              // 00000000484C: 24181882
	s_mul_i32 s60, s46, 0x880                                  // 000000004850: 923CFF2E 00000880
	v_add_u32_e32 v24, s60, v12                                // 000000004858: 6830183C
	v_lshrrev_b32_e32 v32, 5, v0                               // 00000000485C: 20400085
	v_mul_i32_i24_e32 v15, 0x80, v32                           // 000000004860: 0C1E40FF 00000080
	v_and_b32_e32 v32, 31, v0                                  // 000000004868: 2640009F
	v_and_b32_e32 v33, 7, v32                                  // 00000000486C: 26424087
	v_and_b32_e32 v34, 1, v33                                  // 000000004870: 26444281
	v_lshlrev_b32_e32 v34, 2, v34                              // 000000004874: 24444482
	v_add_u32_e32 v15, v34, v15                                // 000000004878: 681E1F22
	v_and_b32_e32 v34, 2, v33                                  // 00000000487C: 26444282
	v_lshlrev_b32_e32 v34, 3, v34                              // 000000004880: 24444483
	v_add_u32_e32 v15, v34, v15                                // 000000004884: 681E1F22
	v_and_b32_e32 v34, 4, v33                                  // 000000004888: 26444284
	v_lshlrev_b32_e32 v34, 1, v34                              // 00000000488C: 24444481
	v_add_u32_e32 v15, v34, v15                                // 000000004890: 681E1F22
	v_lshrrev_b32_e32 v33, 3, v32                              // 000000004894: 20424083
	v_and_b32_e32 v34, 1, v33                                  // 000000004898: 26444281
	v_lshlrev_b32_e32 v34, 1, v34                              // 00000000489C: 24444481
	v_add_u32_e32 v15, v34, v15                                // 0000000048A0: 681E1F22
	v_and_b32_e32 v34, 2, v33                                  // 0000000048A4: 26444282
	v_lshrrev_b32_e32 v34, 1, v34                              // 0000000048A8: 20444481
	v_add_u32_e32 v15, v34, v15                                // 0000000048AC: 681E1F22
	s_mul_i32 s60, s46, 32                                     // 0000000048B0: 923CA02E
	v_add_u32_e32 v15, s60, v15                                // 0000000048B4: 681E1E3C
	v_lshlrev_b32_e32 v15, 2, v15                              // 0000000048B8: 241E1E82
	v_and_b32_e32 v32, 15, v0                                  // 0000000048BC: 2640008F
	v_and_b32_e32 v34, 1, v32                                  // 0000000048C0: 26444081
	v_mul_i32_i24_e32 v14, 0x108, v34                          // 0000000048C4: 0C1C44FF 00000108
	v_and_b32_e32 v34, 2, v32                                  // 0000000048CC: 26444082
	v_lshlrev_b32_e32 v34, 1, v34                              // 0000000048D0: 24444481
	v_add_u32_e32 v14, v34, v14                                // 0000000048D4: 681C1D22
	v_and_b32_e32 v34, 4, v32                                  // 0000000048D8: 26444084
	v_lshlrev_b32_e32 v34, 2, v34                              // 0000000048DC: 24444482
	v_add_u32_e32 v14, v34, v14                                // 0000000048E0: 681C1D22
	v_and_b32_e32 v34, 8, v32                                  // 0000000048E4: 26444088
	v_add_u32_e32 v14, v34, v14                                // 0000000048E8: 681C1D22
	v_lshrrev_b32_e32 v32, 4, v0                               // 0000000048EC: 20400084
	v_and_b32_e32 v34, 1, v32                                  // 0000000048F0: 26444081
	v_lshlrev_b32_e32 v34, 5, v34                              // 0000000048F4: 24444485
	v_add_u32_e32 v14, v34, v14                                // 0000000048F8: 681C1D22
	v_and_b32_e32 v33, 2, v32                                  // 0000000048FC: 26424082
	v_mul_i32_i24_e32 v34, 32, v33                             // 000000004900: 0C4442A0
	v_mul_i32_i24_e32 v33, 0x110, v33                          // 000000004904: 0C4242FF 00000110
	v_add_u32_e32 v25, v33, v14                                // 00000000490C: 68321D21
	v_add_u32_e32 v14, v34, v14                                // 000000004910: 681C1D22
	v_lshlrev_b32_e32 v14, 2, v14                              // 000000004914: 241C1C82
	v_lshlrev_b32_e32 v25, 2, v25                              // 000000004918: 24323282
	s_and_b32 s60, 1, s46                                      // 00000000491C: 863C2E81
	s_mul_i32 s60, s60, 0x200                                  // 000000004920: 923CFF3C 00000200
	v_add_u32_e32 v25, s60, v25                                // 000000004928: 6832323C
	v_lshrrev_b32_e32 v32, 4, v0                               // 00000000492C: 20400084
	v_mul_i32_i24_e32 v23, 4, v32                              // 000000004930: 0C2E4084
	v_and_b32_e32 v33, 3, v0                                   // 000000004934: 26420083
	v_add_u32_e32 v23, v33, v23                                // 000000004938: 682E2F21
	v_lshlrev_b32_e32 v23, 2, v23                              // 00000000493C: 242E2E82
	v_lshrrev_b32_e32 v32, 4, v0                               // 000000004940: 20400084
	v_and_b32_e32 v33, 1, v32                                  // 000000004944: 26424081
	v_mul_i32_i24_e32 v21, 0x100, v33                          // 000000004948: 0C2A42FF 00000100
	v_and_b32_e32 v33, 2, v32                                  // 000000004950: 26424082
	v_mul_i32_i24_e32 v33, 64, v33                             // 000000004954: 0C4242C0
	v_add_u32_e32 v21, v33, v21                                // 000000004958: 682A2B21
	v_and_b32_e32 v32, 15, v0                                  // 00000000495C: 2640008F
	v_mul_i32_i24_e32 v33, 2, v32                              // 000000004960: 0C424082
	v_add_u32_e32 v21, v33, v21                                // 000000004964: 682A2B21
	s_mul_i32 s60, s46, 32                                     // 000000004968: 923CA02E
	v_add_u32_e32 v21, s60, v21                                // 00000000496C: 682A2A3C
	v_lshlrev_b32_e32 v21, 2, v21                              // 000000004970: 242A2A82
	v_lshlrev_b32_e32 v22, 1, v0                               // 000000004974: 242C0081
	s_mul_i32 s60, s46, 0x200                                  // 000000004978: 923CFF2E 00000200
	v_add_u32_e32 v22, s60, v22                                // 000000004980: 682C2C3C
	v_lshlrev_b32_e32 v22, 2, v22                              // 000000004984: 242C2C82
	v_lshrrev_b32_e32 v32, 5, v0                               // 000000004988: 20400085
	v_mul_i32_i24_e32 v19, 64, v32                             // 00000000498C: 0C2640C0
	v_and_b32_e32 v32, 31, v0                                  // 000000004990: 2640009F
	v_and_b32_e32 v32, 3, v32                                  // 000000004994: 26404083
	v_and_b32_e32 v33, 1, v32                                  // 000000004998: 26424081
	v_mul_i32_i24_e32 v33, 4, v33                              // 00000000499C: 0C424284
	v_add_u32_e32 v19, v33, v19                                // 0000000049A0: 68262721
	v_and_b32_e32 v33, 2, v32                                  // 0000000049A4: 26424082
	v_mul_i32_i24_e32 v33, 0x44, v33                           // 0000000049A8: 0C4242FF 00000044
	v_add_u32_e32 v19, v33, v19                                // 0000000049B0: 68262721
	v_and_b32_e32 v32, 31, v0                                  // 0000000049B4: 2640009F
	v_lshrrev_b32_e32 v32, 2, v32                              // 0000000049B8: 20404082
	v_lshrrev_b32_e32 v34, 2, v32                              // 0000000049BC: 20444082
	v_mul_i32_i24_e32 v33, 16, v34                             // 0000000049C0: 0C424490
	v_add_u32_e32 v19, v33, v19                                // 0000000049C4: 68262721
	v_and_b32_e32 v33, 2, v32                                  // 0000000049C8: 26424082
	v_lshlrev_b32_e32 v33, 4, v33                              // 0000000049CC: 24424284
	v_add_u32_e32 v19, v33, v19                                // 0000000049D0: 68262721
	v_and_b32_e32 v33, 1, v32                                  // 0000000049D4: 26424081
	v_xor_b32_e32 v33, v34, v33                                // 0000000049D8: 2A424322
	v_mul_i32_i24_e32 v33, 8, v33                              // 0000000049DC: 0C424288
	v_add_u32_e32 v19, v33, v19                                // 0000000049E0: 68262721
	s_lshr_b32 s60, s46, 1                                     // 0000000049E4: 8F3C812E
	s_mul_i32 s60, s60, 0x6c0                                  // 0000000049E8: 923CFF3C 000006C0
	v_add_u32_e32 v19, s60, v19                                // 0000000049F0: 6826263C
	v_lshlrev_b32_e32 v19, 2, v19                              // 0000000049F4: 24262682
	v_lshrrev_b32_e32 v32, 5, v0                               // 0000000049F8: 20400085
	v_mul_i32_i24_e32 v20, 32, v32                             // 0000000049FC: 0C2840A0
	v_and_b32_e32 v32, 31, v0                                  // 000000004A00: 2640009F
	v_and_b32_e32 v32, 3, v32                                  // 000000004A04: 26404083
	v_and_b32_e32 v33, 1, v32                                  // 000000004A08: 26424081
	v_mul_i32_i24_e32 v33, 4, v33                              // 000000004A0C: 0C424284
	v_add_u32_e32 v20, v33, v20                                // 000000004A10: 68282921
	v_and_b32_e32 v33, 2, v32                                  // 000000004A14: 26424082
	v_lshrrev_b32_e32 v33, 1, v33                              // 000000004A18: 20424281
	v_add_u32_e32 v20, v33, v20                                // 000000004A1C: 68282921
	v_and_b32_e32 v32, 31, v0                                  // 000000004A20: 2640009F
	v_lshrrev_b32_e32 v32, 2, v32                              // 000000004A24: 20404082
	v_and_b32_e32 v34, 1, v32                                  // 000000004A28: 26444081
	v_mul_i32_i24_e32 v33, 16, v34                             // 000000004A2C: 0C424490
	v_add_u32_e32 v20, v33, v20                                // 000000004A30: 68282921
	v_and_b32_e32 v33, 2, v32                                  // 000000004A34: 26424082
	v_add_u32_e32 v20, v33, v20                                // 000000004A38: 68282921
	v_lshrrev_b32_e32 v33, 2, v32                              // 000000004A3C: 20424082
	v_xor_b32_e32 v33, v34, v33                                // 000000004A40: 2A424322
	v_mul_i32_i24_e32 v33, 8, v33                              // 000000004A44: 0C424288
	v_add_u32_e32 v20, v33, v20                                // 000000004A48: 68282921
	s_and_b32 s60, 1, s46                                      // 000000004A4C: 863C2E81
	s_mul_i32 s60, s60, 64                                     // 000000004A50: 923CC03C
	s_lshr_b32 s61, s46, 1                                     // 000000004A54: 8F3D812E
	s_mul_i32 s61, s61, 0x120                                  // 000000004A58: 923DFF3D 00000120
	s_add_u32 s60, s60, s61                                    // 000000004A60: 803C3D3C
	v_add_u32_e32 v20, s60, v20                                // 000000004A64: 6828283C
	v_lshlrev_b32_e32 v20, 2, v20                              // 000000004A68: 24282882
	buffer_load_dword v180, v1, s[12:15], 0 idxen              // 000000004A6C: E0502000 8003B401
	buffer_load_dword v181, v2, s[12:15], 0 idxen              // 000000004A74: E0502000 8003B502
	s_mul_i32 s60, 4, s6                                       // 000000004A7C: 923C0684
	s_cmp_lt_i32 0, s72                                        // 000000004A80: BF044880
	s_cselect_b32 s60, s60, 0                                  // 000000004A84: 853C803C
	v_add_u32_e32 v1, s60, v1                                  // 000000004A88: 6802023C
	v_add_u32_e32 v2, s60, v2                                  // 000000004A8C: 6804043C
	buffer_load_dword v182, v1, s[12:15], 0 idxen              // 000000004A90: E0502000 8003B601
	buffer_load_dword v183, v2, s[12:15], 0 idxen              // 000000004A98: E0502000 8003B702
	s_mul_i32 s60, 4, s6                                       // 000000004AA0: 923C0684
	s_cmp_lt_i32 0, s72                                        // 000000004AA4: BF044880
	s_cselect_b32 s60, s60, 0                                  // 000000004AA8: 853C803C
	v_add_u32_e32 v1, s60, v1                                  // 000000004AAC: 6802023C
	v_add_u32_e32 v2, s60, v2                                  // 000000004AB0: 6804043C
	buffer_load_dword v184, v1, s[12:15], 0 idxen              // 000000004AB4: E0502000 8003B801
	buffer_load_dword v185, v2, s[12:15], 0 idxen              // 000000004ABC: E0502000 8003B902
	s_mul_i32 s60, 4, s6                                       // 000000004AC4: 923C0684
	s_cmp_lt_i32 0, s72                                        // 000000004AC8: BF044880
	s_cselect_b32 s60, s60, 0                                  // 000000004ACC: 853C803C
	v_add_u32_e32 v1, s60, v1                                  // 000000004AD0: 6802023C
	v_add_u32_e32 v2, s60, v2                                  // 000000004AD4: 6804043C
	buffer_load_dword v186, v1, s[12:15], 0 idxen              // 000000004AD8: E0502000 8003BA01
	buffer_load_dword v187, v2, s[12:15], 0 idxen              // 000000004AE0: E0502000 8003BB02
	s_mul_i32 s60, 4, s6                                       // 000000004AE8: 923C0684
	s_cmp_lt_i32 1, s72                                        // 000000004AEC: BF044881
	s_cselect_b32 s60, s60, 0                                  // 000000004AF0: 853C803C
	v_add_u32_e32 v1, s60, v1                                  // 000000004AF4: 6802023C
	v_add_u32_e32 v2, s60, v2                                  // 000000004AF8: 6804043C
	buffer_load_dword v188, v1, s[12:15], 0 idxen              // 000000004AFC: E0502000 8003BC01
	buffer_load_dword v189, v2, s[12:15], 0 idxen              // 000000004B04: E0502000 8003BD02
	s_mul_i32 s60, 4, s6                                       // 000000004B0C: 923C0684
	s_cmp_lt_i32 1, s72                                        // 000000004B10: BF044881
	s_cselect_b32 s60, s60, 0                                  // 000000004B14: 853C803C
	v_add_u32_e32 v1, s60, v1                                  // 000000004B18: 6802023C
	v_add_u32_e32 v2, s60, v2                                  // 000000004B1C: 6804043C
	buffer_load_dword v190, v1, s[12:15], 0 idxen              // 000000004B20: E0502000 8003BE01
	buffer_load_dword v191, v2, s[12:15], 0 idxen              // 000000004B28: E0502000 8003BF02
	s_mul_i32 s60, 4, s6                                       // 000000004B30: 923C0684
	s_cmp_lt_i32 1, s72                                        // 000000004B34: BF044881
	s_cselect_b32 s60, s60, 0                                  // 000000004B38: 853C803C
	v_add_u32_e32 v1, s60, v1                                  // 000000004B3C: 6802023C
	v_add_u32_e32 v2, s60, v2                                  // 000000004B40: 6804043C
	buffer_load_dword v192, v1, s[12:15], 0 idxen              // 000000004B44: E0502000 8003C001
	buffer_load_dword v193, v2, s[12:15], 0 idxen              // 000000004B4C: E0502000 8003C102
	s_mul_i32 s60, 4, s6                                       // 000000004B54: 923C0684
	s_cmp_lt_i32 1, s72                                        // 000000004B58: BF044881
	s_cselect_b32 s60, s60, 0                                  // 000000004B5C: 853C803C
	v_add_u32_e32 v1, s60, v1                                  // 000000004B60: 6802023C
	v_add_u32_e32 v2, s60, v2                                  // 000000004B64: 6804043C
	buffer_load_dword v194, v1, s[12:15], 0 idxen              // 000000004B68: E0502000 8003C201
	buffer_load_dword v195, v2, s[12:15], 0 idxen              // 000000004B70: E0502000 8003C302
	s_mul_i32 s60, 4, s6                                       // 000000004B78: 923C0684
	s_cmp_lt_i32 2, s72                                        // 000000004B7C: BF044882
	s_cselect_b32 s60, s60, 0                                  // 000000004B80: 853C803C
	v_add_u32_e32 v1, s60, v1                                  // 000000004B84: 6802023C
	v_add_u32_e32 v2, s60, v2                                  // 000000004B88: 6804043C
	buffer_load_dword v196, v1, s[12:15], 0 idxen              // 000000004B8C: E0502000 8003C401
	buffer_load_dword v197, v2, s[12:15], 0 idxen              // 000000004B94: E0502000 8003C502
	s_mul_i32 s60, 4, s6                                       // 000000004B9C: 923C0684
	s_cmp_lt_i32 2, s72                                        // 000000004BA0: BF044882
	s_cselect_b32 s60, s60, 0                                  // 000000004BA4: 853C803C
	v_add_u32_e32 v1, s60, v1                                  // 000000004BA8: 6802023C
	v_add_u32_e32 v2, s60, v2                                  // 000000004BAC: 6804043C
	buffer_load_dword v198, v1, s[12:15], 0 idxen              // 000000004BB0: E0502000 8003C601
	buffer_load_dword v199, v2, s[12:15], 0 idxen              // 000000004BB8: E0502000 8003C702
	s_mul_i32 s60, 4, s6                                       // 000000004BC0: 923C0684
	s_cmp_lt_i32 2, s72                                        // 000000004BC4: BF044882
	s_cselect_b32 s60, s60, 0                                  // 000000004BC8: 853C803C
	v_add_u32_e32 v1, s60, v1                                  // 000000004BCC: 6802023C
	v_add_u32_e32 v2, s60, v2                                  // 000000004BD0: 6804043C
	buffer_load_dword v200, v1, s[12:15], 0 idxen              // 000000004BD4: E0502000 8003C801
	buffer_load_dword v201, v2, s[12:15], 0 idxen              // 000000004BDC: E0502000 8003C902
	s_mul_i32 s60, 4, s6                                       // 000000004BE4: 923C0684
	s_cmp_lt_i32 2, s72                                        // 000000004BE8: BF044882
	s_cselect_b32 s60, s60, 0                                  // 000000004BEC: 853C803C
	v_add_u32_e32 v1, s60, v1                                  // 000000004BF0: 6802023C
	v_add_u32_e32 v2, s60, v2                                  // 000000004BF4: 6804043C
	buffer_load_dword v202, v1, s[12:15], 0 idxen              // 000000004BF8: E0502000 8003CA01
	buffer_load_dword v203, v2, s[12:15], 0 idxen              // 000000004C00: E0502000 8003CB02
	s_mul_i32 s60, 4, s6                                       // 000000004C08: 923C0684
	s_cmp_lt_i32 3, s72                                        // 000000004C0C: BF044883
	s_cselect_b32 s60, s60, 0                                  // 000000004C10: 853C803C
	v_add_u32_e32 v1, s60, v1                                  // 000000004C14: 6802023C
	v_add_u32_e32 v2, s60, v2                                  // 000000004C18: 6804043C
	s_waitcnt vmcnt(16) lgkmcnt(0)                             // 000000004C1C: BF8C4070
	s_barrier                                                  // 000000004C20: BF8A0000
	s_cmp_lt_i32 0, s72                                        // 000000004C24: BF044880
	s_cbranch_scc1 label_0313                                  // 000000004C28: BF850008
	v_mov_b32_e32 v180, 0                                      // 000000004C2C: 7F680280
	v_mov_b32_e32 v181, 0                                      // 000000004C30: 7F6A0280
	v_mov_b32_e32 v182, 0                                      // 000000004C34: 7F6C0280
	v_mov_b32_e32 v183, 0                                      // 000000004C38: 7F6E0280
	v_mov_b32_e32 v184, 0                                      // 000000004C3C: 7F700280
	v_mov_b32_e32 v185, 0                                      // 000000004C40: 7F720280
	v_mov_b32_e32 v186, 0                                      // 000000004C44: 7F740280
	v_mov_b32_e32 v187, 0                                      // 000000004C48: 7F760280

0000000000004c4c <label_0313>:
	v_perm_b32 v204, v181, v180, s63                           // 000000004C4C: D1ED00CC 00FF69B5
	v_perm_b32 v205, v181, v180, s64                           // 000000004C54: D1ED00CD 010369B5
	v_perm_b32 v206, v183, v182, s63                           // 000000004C5C: D1ED00CE 00FF6DB7
	v_perm_b32 v207, v183, v182, s64                           // 000000004C64: D1ED00CF 01036DB7
	v_perm_b32 v208, v185, v184, s63                           // 000000004C6C: D1ED00D0 00FF71B9
	v_perm_b32 v209, v185, v184, s64                           // 000000004C74: D1ED00D1 010371B9
	v_perm_b32 v210, v187, v186, s63                           // 000000004C7C: D1ED00D2 00FF75BB
	v_perm_b32 v211, v187, v186, s64                           // 000000004C84: D1ED00D3 010375BB
	ds_write_b32 v15, v204 offset:8704                         // 000000004C8C: D81A2200 0000CC0F
	ds_write_b32 v15, v205 offset:9760                         // 000000004C94: D81A2620 0000CD0F
	ds_write_b32 v15, v206 offset:10880                        // 000000004C9C: D81A2A80 0000CE0F
	ds_write_b32 v15, v207 offset:11936                        // 000000004CA4: D81A2EA0 0000CF0F
	ds_write_b32 v15, v208 offset:13056                        // 000000004CAC: D81A3300 0000D00F
	ds_write_b32 v15, v209 offset:14112                        // 000000004CB4: D81A3720 0000D10F
	ds_write_b32 v15, v210 offset:15232                        // 000000004CBC: D81A3B80 0000D20F
	ds_write_b32 v15, v211 offset:16288                        // 000000004CC4: D81A3FA0 0000D30F
	ds_write_b32 v13, v180                                     // 000000004CCC: D81A0000 0000B40D
	ds_write_b32 v13, v181 offset:1056                         // 000000004CD4: D81A0420 0000B50D
	ds_write_b32 v13, v182 offset:2176                         // 000000004CDC: D81A0880 0000B60D
	ds_write_b32 v13, v183 offset:3232                         // 000000004CE4: D81A0CA0 0000B70D
	ds_write_b32 v13, v184 offset:4352                         // 000000004CEC: D81A1100 0000B80D
	ds_write_b32 v13, v185 offset:5408                         // 000000004CF4: D81A1520 0000B90D
	ds_write_b32 v13, v186 offset:6528                         // 000000004CFC: D81A1980 0000BA0D
	ds_write_b32 v13, v187 offset:7584                         // 000000004D04: D81A1DA0 0000BB0D
	buffer_load_dword v180, v228, s[16:19], 0 idxen            // 000000004D0C: E0502000 8004B4E4
	buffer_load_dword v181, v229, s[16:19], 0 idxen            // 000000004D14: E0502000 8004B5E5
	s_mul_i32 s60, 4, s7                                       // 000000004D1C: 923C0784
	s_cmp_lt_i32 0, s72                                        // 000000004D20: BF044880
	s_cselect_b32 s60, s60, 0                                  // 000000004D24: 853C803C
	v_add_u32_e32 v228, s60, v228                              // 000000004D28: 69C9C83C
	v_add_u32_e32 v229, s60, v229                              // 000000004D2C: 69CBCA3C
	buffer_load_dword v182, v228, s[16:19], 0 idxen            // 000000004D30: E0502000 8004B6E4
	buffer_load_dword v183, v229, s[16:19], 0 idxen            // 000000004D38: E0502000 8004B7E5
	s_mul_i32 s60, 4, s7                                       // 000000004D40: 923C0784
	s_cmp_lt_i32 0, s72                                        // 000000004D44: BF044880
	s_cselect_b32 s60, s60, 0                                  // 000000004D48: 853C803C
	v_add_u32_e32 v228, s60, v228                              // 000000004D4C: 69C9C83C
	v_add_u32_e32 v229, s60, v229                              // 000000004D50: 69CBCA3C
	buffer_load_dword v184, v228, s[16:19], 0 idxen            // 000000004D54: E0502000 8004B8E4
	buffer_load_dword v185, v229, s[16:19], 0 idxen            // 000000004D5C: E0502000 8004B9E5
	s_mul_i32 s60, 4, s7                                       // 000000004D64: 923C0784
	s_cmp_lt_i32 0, s72                                        // 000000004D68: BF044880
	s_cselect_b32 s60, s60, 0                                  // 000000004D6C: 853C803C
	v_add_u32_e32 v228, s60, v228                              // 000000004D70: 69C9C83C
	v_add_u32_e32 v229, s60, v229                              // 000000004D74: 69CBCA3C
	buffer_load_dword v186, v228, s[16:19], 0 idxen            // 000000004D78: E0502000 8004BAE4
	buffer_load_dword v187, v229, s[16:19], 0 idxen            // 000000004D80: E0502000 8004BBE5
	s_mul_i32 s60, 4, s7                                       // 000000004D88: 923C0784
	s_cmp_lt_i32 1, s72                                        // 000000004D8C: BF044881
	s_cselect_b32 s60, s60, 0                                  // 000000004D90: 853C803C
	v_add_u32_e32 v228, s60, v228                              // 000000004D94: 69C9C83C
	v_add_u32_e32 v229, s60, v229                              // 000000004D98: 69CBCA3C
	s_waitcnt lgkmcnt(0)                                       // 000000004D9C: BF8CC07F
	s_barrier                                                  // 000000004DA0: BF8A0000
	ds_read_b128 a[24:27], v25 offset:8704                     // 000000004DA4: DBFE2200 18000019
	ds_read_b128 a[28:31], v25 offset:8960                     // 000000004DAC: DBFE2300 1C000019
	ds_read_b128 a[32:35], v25 offset:13056                    // 000000004DB4: DBFE3300 20000019
	ds_read_b128 a[36:39], v25 offset:13312                    // 000000004DBC: DBFE3400 24000019
	ds_read_b128 a[0:3], v24                                   // 000000004DC4: DBFE0000 00000018
	ds_read_b128 a[4:7], v24 offset:512                        // 000000004DCC: DBFE0200 04000018
	s_waitcnt vmcnt(16) lgkmcnt(0)                             // 000000004DD4: BF8C4070
	s_barrier                                                  // 000000004DD8: BF8A0000
	s_cmp_lt_i32 1, s72                                        // 000000004DDC: BF044881
	s_cbranch_scc1 label_0381                                  // 000000004DE0: BF850008
	v_mov_b32_e32 v188, 0                                      // 000000004DE4: 7F780280
	v_mov_b32_e32 v189, 0                                      // 000000004DE8: 7F7A0280
	v_mov_b32_e32 v190, 0                                      // 000000004DEC: 7F7C0280
	v_mov_b32_e32 v191, 0                                      // 000000004DF0: 7F7E0280
	v_mov_b32_e32 v192, 0                                      // 000000004DF4: 7F800280
	v_mov_b32_e32 v193, 0                                      // 000000004DF8: 7F820280
	v_mov_b32_e32 v194, 0                                      // 000000004DFC: 7F840280
	v_mov_b32_e32 v195, 0                                      // 000000004E00: 7F860280

0000000000004e04 <label_0381>:
	v_perm_b32 v204, v189, v188, s63                           // 000000004E04: D1ED00CC 00FF79BD
	v_perm_b32 v205, v189, v188, s64                           // 000000004E0C: D1ED00CD 010379BD
	v_perm_b32 v206, v191, v190, s63                           // 000000004E14: D1ED00CE 00FF7DBF
	v_perm_b32 v207, v191, v190, s64                           // 000000004E1C: D1ED00CF 01037DBF
	v_perm_b32 v208, v193, v192, s63                           // 000000004E24: D1ED00D0 00FF81C1
	v_perm_b32 v209, v193, v192, s64                           // 000000004E2C: D1ED00D1 010381C1
	v_perm_b32 v210, v195, v194, s63                           // 000000004E34: D1ED00D2 00FF85C3
	v_perm_b32 v211, v195, v194, s64                           // 000000004E3C: D1ED00D3 010385C3
	ds_write_b32 v15, v204 offset:8704                         // 000000004E44: D81A2200 0000CC0F
	ds_write_b32 v15, v205 offset:9760                         // 000000004E4C: D81A2620 0000CD0F
	ds_write_b32 v15, v206 offset:10880                        // 000000004E54: D81A2A80 0000CE0F
	ds_write_b32 v15, v207 offset:11936                        // 000000004E5C: D81A2EA0 0000CF0F
	ds_write_b32 v15, v208 offset:13056                        // 000000004E64: D81A3300 0000D00F
	ds_write_b32 v15, v209 offset:14112                        // 000000004E6C: D81A3720 0000D10F
	ds_write_b32 v15, v210 offset:15232                        // 000000004E74: D81A3B80 0000D20F
	ds_write_b32 v15, v211 offset:16288                        // 000000004E7C: D81A3FA0 0000D30F
	ds_write_b32 v13, v188                                     // 000000004E84: D81A0000 0000BC0D
	ds_write_b32 v13, v189 offset:1056                         // 000000004E8C: D81A0420 0000BD0D
	ds_write_b32 v13, v190 offset:2176                         // 000000004E94: D81A0880 0000BE0D
	ds_write_b32 v13, v191 offset:3232                         // 000000004E9C: D81A0CA0 0000BF0D
	ds_write_b32 v13, v192 offset:4352                         // 000000004EA4: D81A1100 0000C00D
	ds_write_b32 v13, v193 offset:5408                         // 000000004EAC: D81A1520 0000C10D
	ds_write_b32 v13, v194 offset:6528                         // 000000004EB4: D81A1980 0000C20D
	ds_write_b32 v13, v195 offset:7584                         // 000000004EBC: D81A1DA0 0000C30D
	buffer_load_dword v188, v228, s[16:19], 0 idxen            // 000000004EC4: E0502000 8004BCE4
	buffer_load_dword v189, v229, s[16:19], 0 idxen            // 000000004ECC: E0502000 8004BDE5
	s_mul_i32 s60, 4, s7                                       // 000000004ED4: 923C0784
	s_cmp_lt_i32 1, s72                                        // 000000004ED8: BF044881
	s_cselect_b32 s60, s60, 0                                  // 000000004EDC: 853C803C
	v_add_u32_e32 v228, s60, v228                              // 000000004EE0: 69C9C83C
	v_add_u32_e32 v229, s60, v229                              // 000000004EE4: 69CBCA3C
	buffer_load_dword v190, v228, s[16:19], 0 idxen            // 000000004EE8: E0502000 8004BEE4
	buffer_load_dword v191, v229, s[16:19], 0 idxen            // 000000004EF0: E0502000 8004BFE5
	s_mul_i32 s60, 4, s7                                       // 000000004EF8: 923C0784
	s_cmp_lt_i32 1, s72                                        // 000000004EFC: BF044881
	s_cselect_b32 s60, s60, 0                                  // 000000004F00: 853C803C
	v_add_u32_e32 v228, s60, v228                              // 000000004F04: 69C9C83C
	v_add_u32_e32 v229, s60, v229                              // 000000004F08: 69CBCA3C
	buffer_load_dword v192, v228, s[16:19], 0 idxen            // 000000004F0C: E0502000 8004C0E4
	buffer_load_dword v193, v229, s[16:19], 0 idxen            // 000000004F14: E0502000 8004C1E5
	s_mul_i32 s60, 4, s7                                       // 000000004F1C: 923C0784
	s_cmp_lt_i32 1, s72                                        // 000000004F20: BF044881
	s_cselect_b32 s60, s60, 0                                  // 000000004F24: 853C803C
	v_add_u32_e32 v228, s60, v228                              // 000000004F28: 69C9C83C
	v_add_u32_e32 v229, s60, v229                              // 000000004F2C: 69CBCA3C
	buffer_load_dword v194, v228, s[16:19], 0 idxen            // 000000004F30: E0502000 8004C2E4
	buffer_load_dword v195, v229, s[16:19], 0 idxen            // 000000004F38: E0502000 8004C3E5
	s_mul_i32 s60, 4, s7                                       // 000000004F40: 923C0784
	s_cmp_lt_i32 2, s72                                        // 000000004F44: BF044882
	s_cselect_b32 s60, s60, 0                                  // 000000004F48: 853C803C
	v_add_u32_e32 v228, s60, v228                              // 000000004F4C: 69C9C83C
	v_add_u32_e32 v229, s60, v229                              // 000000004F50: 69CBCA3C
	s_waitcnt lgkmcnt(0)                                       // 000000004F54: BF8CC07F
	s_barrier                                                  // 000000004F58: BF8A0000
	ds_read_b128 a[40:43], v25 offset:8704                     // 000000004F5C: DBFE2200 28000019
	ds_read_b128 a[44:47], v25 offset:8960                     // 000000004F64: DBFE2300 2C000019
	ds_read_b128 a[48:51], v25 offset:13056                    // 000000004F6C: DBFE3300 30000019
	ds_read_b128 a[52:55], v25 offset:13312                    // 000000004F74: DBFE3400 34000019
	ds_read_b128 a[8:11], v24                                  // 000000004F7C: DBFE0000 08000018
	ds_read_b128 a[12:15], v24 offset:512                      // 000000004F84: DBFE0200 0C000018
	s_waitcnt vmcnt(16) lgkmcnt(0)                             // 000000004F8C: BF8C4070
	s_barrier                                                  // 000000004F90: BF8A0000
	s_cmp_lt_i32 2, s72                                        // 000000004F94: BF044882
	s_cbranch_scc1 label_03EF                                  // 000000004F98: BF850008
	v_mov_b32_e32 v196, 0                                      // 000000004F9C: 7F880280
	v_mov_b32_e32 v197, 0                                      // 000000004FA0: 7F8A0280
	v_mov_b32_e32 v198, 0                                      // 000000004FA4: 7F8C0280
	v_mov_b32_e32 v199, 0                                      // 000000004FA8: 7F8E0280
	v_mov_b32_e32 v200, 0                                      // 000000004FAC: 7F900280
	v_mov_b32_e32 v201, 0                                      // 000000004FB0: 7F920280
	v_mov_b32_e32 v202, 0                                      // 000000004FB4: 7F940280
	v_mov_b32_e32 v203, 0                                      // 000000004FB8: 7F960280

0000000000004fbc <label_03EF>:
	v_perm_b32 v204, v197, v196, s63                           // 000000004FBC: D1ED00CC 00FF89C5
	v_perm_b32 v205, v197, v196, s64                           // 000000004FC4: D1ED00CD 010389C5
	v_perm_b32 v206, v199, v198, s63                           // 000000004FCC: D1ED00CE 00FF8DC7
	v_perm_b32 v207, v199, v198, s64                           // 000000004FD4: D1ED00CF 01038DC7
	v_perm_b32 v208, v201, v200, s63                           // 000000004FDC: D1ED00D0 00FF91C9
	v_perm_b32 v209, v201, v200, s64                           // 000000004FE4: D1ED00D1 010391C9
	v_perm_b32 v210, v203, v202, s63                           // 000000004FEC: D1ED00D2 00FF95CB
	v_perm_b32 v211, v203, v202, s64                           // 000000004FF4: D1ED00D3 010395CB
	ds_write_b32 v15, v204 offset:8704                         // 000000004FFC: D81A2200 0000CC0F
	ds_write_b32 v15, v205 offset:9760                         // 000000005004: D81A2620 0000CD0F
	ds_write_b32 v15, v206 offset:10880                        // 00000000500C: D81A2A80 0000CE0F
	ds_write_b32 v15, v207 offset:11936                        // 000000005014: D81A2EA0 0000CF0F
	ds_write_b32 v15, v208 offset:13056                        // 00000000501C: D81A3300 0000D00F
	ds_write_b32 v15, v209 offset:14112                        // 000000005024: D81A3720 0000D10F
	ds_write_b32 v15, v210 offset:15232                        // 00000000502C: D81A3B80 0000D20F
	ds_write_b32 v15, v211 offset:16288                        // 000000005034: D81A3FA0 0000D30F
	ds_write_b32 v13, v196                                     // 00000000503C: D81A0000 0000C40D
	ds_write_b32 v13, v197 offset:1056                         // 000000005044: D81A0420 0000C50D
	ds_write_b32 v13, v198 offset:2176                         // 00000000504C: D81A0880 0000C60D
	ds_write_b32 v13, v199 offset:3232                         // 000000005054: D81A0CA0 0000C70D
	ds_write_b32 v13, v200 offset:4352                         // 00000000505C: D81A1100 0000C80D
	ds_write_b32 v13, v201 offset:5408                         // 000000005064: D81A1520 0000C90D
	ds_write_b32 v13, v202 offset:6528                         // 00000000506C: D81A1980 0000CA0D
	ds_write_b32 v13, v203 offset:7584                         // 000000005074: D81A1DA0 0000CB0D
	buffer_load_dword v196, v228, s[16:19], 0 idxen            // 00000000507C: E0502000 8004C4E4
	buffer_load_dword v197, v229, s[16:19], 0 idxen            // 000000005084: E0502000 8004C5E5
	s_mul_i32 s60, 4, s7                                       // 00000000508C: 923C0784
	s_cmp_lt_i32 2, s72                                        // 000000005090: BF044882
	s_cselect_b32 s60, s60, 0                                  // 000000005094: 853C803C
	v_add_u32_e32 v228, s60, v228                              // 000000005098: 69C9C83C
	v_add_u32_e32 v229, s60, v229                              // 00000000509C: 69CBCA3C
	buffer_load_dword v198, v228, s[16:19], 0 idxen            // 0000000050A0: E0502000 8004C6E4
	buffer_load_dword v199, v229, s[16:19], 0 idxen            // 0000000050A8: E0502000 8004C7E5
	s_mul_i32 s60, 4, s7                                       // 0000000050B0: 923C0784
	s_cmp_lt_i32 2, s72                                        // 0000000050B4: BF044882
	s_cselect_b32 s60, s60, 0                                  // 0000000050B8: 853C803C
	v_add_u32_e32 v228, s60, v228                              // 0000000050BC: 69C9C83C
	v_add_u32_e32 v229, s60, v229                              // 0000000050C0: 69CBCA3C
	buffer_load_dword v200, v228, s[16:19], 0 idxen            // 0000000050C4: E0502000 8004C8E4
	buffer_load_dword v201, v229, s[16:19], 0 idxen            // 0000000050CC: E0502000 8004C9E5
	s_mul_i32 s60, 4, s7                                       // 0000000050D4: 923C0784
	s_cmp_lt_i32 2, s72                                        // 0000000050D8: BF044882
	s_cselect_b32 s60, s60, 0                                  // 0000000050DC: 853C803C
	v_add_u32_e32 v228, s60, v228                              // 0000000050E0: 69C9C83C
	v_add_u32_e32 v229, s60, v229                              // 0000000050E4: 69CBCA3C
	buffer_load_dword v202, v228, s[16:19], 0 idxen            // 0000000050E8: E0502000 8004CAE4
	buffer_load_dword v203, v229, s[16:19], 0 idxen            // 0000000050F0: E0502000 8004CBE5
	s_mul_i32 s60, 4, s7                                       // 0000000050F8: 923C0784
	s_cmp_lt_i32 3, s72                                        // 0000000050FC: BF044883
	s_cselect_b32 s60, s60, 0                                  // 000000005100: 853C803C
	v_add_u32_e32 v228, s60, v228                              // 000000005104: 69C9C83C
	v_add_u32_e32 v229, s60, v229                              // 000000005108: 69CBCA3C
	s_waitcnt lgkmcnt(0)                                       // 00000000510C: BF8CC07F
	s_barrier                                                  // 000000005110: BF8A0000
	ds_read_b128 a[56:59], v25 offset:8704                     // 000000005114: DBFE2200 38000019
	ds_read_b128 a[60:63], v25 offset:8960                     // 00000000511C: DBFE2300 3C000019
	ds_read_b128 a[64:67], v25 offset:13056                    // 000000005124: DBFE3300 40000019
	ds_read_b128 a[68:71], v25 offset:13312                    // 00000000512C: DBFE3400 44000019
	ds_read_b128 a[16:19], v24                                 // 000000005134: DBFE0000 10000018
	ds_read_b128 a[20:23], v24 offset:512                      // 00000000513C: DBFE0200 14000018
	s_waitcnt vmcnt(16) lgkmcnt(0)                             // 000000005144: BF8C4070
	s_barrier                                                  // 000000005148: BF8A0000
	s_cmp_lt_i32 0, s72                                        // 00000000514C: BF044880
	s_cbranch_scc1 label_045D                                  // 000000005150: BF850008
	v_mov_b32_e32 v180, 0                                      // 000000005154: 7F680280
	v_mov_b32_e32 v181, 0                                      // 000000005158: 7F6A0280
	v_mov_b32_e32 v182, 0                                      // 00000000515C: 7F6C0280
	v_mov_b32_e32 v183, 0                                      // 000000005160: 7F6E0280
	v_mov_b32_e32 v184, 0                                      // 000000005164: 7F700280
	v_mov_b32_e32 v185, 0                                      // 000000005168: 7F720280
	v_mov_b32_e32 v186, 0                                      // 00000000516C: 7F740280
	v_mov_b32_e32 v187, 0                                      // 000000005170: 7F760280

0000000000005174 <label_045D>:
	ds_write_b32 v13, v180                                     // 000000005174: D81A0000 0000B40D
	ds_write_b32 v13, v181 offset:1056                         // 00000000517C: D81A0420 0000B50D
	ds_write_b32 v13, v182 offset:2176                         // 000000005184: D81A0880 0000B60D
	ds_write_b32 v13, v183 offset:3232                         // 00000000518C: D81A0CA0 0000B70D
	ds_write_b32 v13, v184 offset:4352                         // 000000005194: D81A1100 0000B80D
	ds_write_b32 v13, v185 offset:5408                         // 00000000519C: D81A1520 0000B90D
	ds_write_b32 v13, v186 offset:6528                         // 0000000051A4: D81A1980 0000BA0D
	ds_write_b32 v13, v187 offset:7584                         // 0000000051AC: D81A1DA0 0000BB0D
	s_mov_b32 s71, s5                                          // 0000000051B4: BEC70005
	v_lshrrev_b32_e32 v32, 4, v0                               // 0000000051B8: 20400084
	v_and_b32_e32 v33, 1, v32                                  // 0000000051BC: 26424081
	v_lshlrev_b32_e32 v33, 1, v33                              // 0000000051C0: 24424281
	v_mul_i32_i24_e32 v33, s71, v33                            // 0000000051C4: 0C424247
	v_and_b32_e32 v34, 2, v32                                  // 0000000051C8: 26444082
	v_lshlrev_b32_e32 v34, 5, v34                              // 0000000051CC: 24444485
	v_add_u32_e32 v33, v34, v33                                // 0000000051D0: 68424322
	v_and_b32_e32 v32, 15, v0                                  // 0000000051D4: 2640008F
	v_lshlrev_b32_e32 v32, 2, v32                              // 0000000051D8: 24404082
	v_add_u32_e32 v1, v32, v33                                 // 0000000051DC: 68024320
	s_mul_i32 s60, s46, s71                                    // 0000000051E0: 923C472E
	s_mul_i32 s60, s60, 4                                      // 0000000051E4: 923C843C
	v_add_u32_e32 v1, s60, v1                                  // 0000000051E8: 6802023C
	v_add_u32_e32 v2, s71, v1                                  // 0000000051EC: 68040247
	s_mul_i32 s60, 16, s71                                     // 0000000051F0: 923C4790
	v_add_u32_e32 v3, s60, v1                                  // 0000000051F4: 6806023C
	v_add_u32_e32 v4, s60, v2                                  // 0000000051F8: 6808043C
	s_mov_b32 s71, s51                                         // 0000000051FC: BEC70033
	v_lshrrev_b32_e32 v32, 4, v0                               // 000000005200: 20400084
	v_and_b32_e32 v33, 1, v32                                  // 000000005204: 26424081
	v_lshlrev_b32_e32 v33, 1, v33                              // 000000005208: 24424281
	v_mul_i32_i24_e32 v33, s71, v33                            // 00000000520C: 0C424247
	v_and_b32_e32 v34, 2, v32                                  // 000000005210: 26444082
	v_lshlrev_b32_e32 v34, 5, v34                              // 000000005214: 24444485
	v_add_u32_e32 v33, v34, v33                                // 000000005218: 68424322
	v_and_b32_e32 v32, 15, v0                                  // 00000000521C: 2640008F
	v_lshlrev_b32_e32 v32, 2, v32                              // 000000005220: 24404082
	v_add_u32_e32 v228, v32, v33                               // 000000005224: 69C84320
	s_mul_i32 s60, s46, s71                                    // 000000005228: 923C472E
	s_mul_i32 s60, s60, 4                                      // 00000000522C: 923C843C
	v_add_u32_e32 v228, s60, v228                              // 000000005230: 69C9C83C
	v_add_u32_e32 v229, s71, v228                              // 000000005234: 69CBC847
	s_mul_i32 s60, 16, s71                                     // 000000005238: 923C4790
	v_add_u32_e32 v230, s60, v228                              // 00000000523C: 69CDC83C
	v_add_u32_e32 v231, s60, v229                              // 000000005240: 69CFCA3C
	v_lshrrev_b32_e32 v1, 2, v1                                // 000000005244: 20020282
	v_lshrrev_b32_e32 v2, 2, v2                                // 000000005248: 20040482
	v_lshrrev_b32_e32 v3, 2, v3                                // 00000000524C: 20060682
	v_lshrrev_b32_e32 v4, 2, v4                                // 000000005250: 20080882
	v_lshrrev_b32_e32 v228, 2, v228                            // 000000005254: 21C9C882
	v_lshrrev_b32_e32 v229, 2, v229                            // 000000005258: 21CBCA82
	v_lshrrev_b32_e32 v230, 2, v230                            // 00000000525C: 21CDCC82
	v_lshrrev_b32_e32 v231, 2, v231                            // 000000005260: 21CFCE82
	buffer_load_dword v36, v1, s[8:11], 0 idxen                // 000000005264: E0502000 80022401
	buffer_load_dword v37, v2, s[8:11], 0 idxen                // 00000000526C: E0502000 80022502
	buffer_load_dword v38, v3, s[8:11], 0 idxen                // 000000005274: E0502000 80022603
	buffer_load_dword v39, v4, s[8:11], 0 idxen                // 00000000527C: E0502000 80022704
	buffer_load_dword v44, v228, s[20:23], 0 idxen             // 000000005284: E0502000 80052CE4
	buffer_load_dword v45, v229, s[20:23], 0 idxen             // 00000000528C: E0502000 80052DE5
	buffer_load_dword v46, v230, s[20:23], 0 idxen             // 000000005294: E0502000 80052EE6
	buffer_load_dword v47, v231, s[20:23], 0 idxen             // 00000000529C: E0502000 80052FE7
	s_waitcnt lgkmcnt(0)                                       // 0000000052A4: BF8CC07F
	s_barrier                                                  // 0000000052A8: BF8A0000
	ds_read_b128 a[72:75], v24                                 // 0000000052AC: DBFE0000 48000018
	ds_read_b128 a[76:79], v24 offset:512                      // 0000000052B4: DBFE0200 4C000018
	v_add_u32_e32 v1, s68, v1                                  // 0000000052BC: 68020244
	v_add_u32_e32 v2, s68, v2                                  // 0000000052C0: 68040444
	v_add_u32_e32 v3, s68, v3                                  // 0000000052C4: 68060644
	v_add_u32_e32 v4, s68, v4                                  // 0000000052C8: 68080844
	v_add_u32_e32 v228, s100, v228                             // 0000000052CC: 69C9C864
	v_add_u32_e32 v229, s100, v229                             // 0000000052D0: 69CBCA64
	v_add_u32_e32 v230, s100, v230                             // 0000000052D4: 69CDCC64
	v_add_u32_e32 v231, s100, v231                             // 0000000052D8: 69CFCE64
	s_waitcnt vmcnt(16) lgkmcnt(0)                             // 0000000052DC: BF8C4070
	s_barrier                                                  // 0000000052E0: BF8A0000
	s_cmp_lt_i32 1, s72                                        // 0000000052E4: BF044881
	s_cbranch_scc1 label_04C3                                  // 0000000052E8: BF850008
	v_mov_b32_e32 v188, 0                                      // 0000000052EC: 7F780280
	v_mov_b32_e32 v189, 0                                      // 0000000052F0: 7F7A0280
	v_mov_b32_e32 v190, 0                                      // 0000000052F4: 7F7C0280
	v_mov_b32_e32 v191, 0                                      // 0000000052F8: 7F7E0280
	v_mov_b32_e32 v192, 0                                      // 0000000052FC: 7F800280
	v_mov_b32_e32 v193, 0                                      // 000000005300: 7F820280
	v_mov_b32_e32 v194, 0                                      // 000000005304: 7F840280
	v_mov_b32_e32 v195, 0                                      // 000000005308: 7F860280

000000000000530c <label_04C3>:
	ds_write_b32 v13, v188                                     // 00000000530C: D81A0000 0000BC0D
	ds_write_b32 v13, v189 offset:1056                         // 000000005314: D81A0420 0000BD0D
	ds_write_b32 v13, v190 offset:2176                         // 00000000531C: D81A0880 0000BE0D
	ds_write_b32 v13, v191 offset:3232                         // 000000005324: D81A0CA0 0000BF0D
	ds_write_b32 v13, v192 offset:4352                         // 00000000532C: D81A1100 0000C00D
	ds_write_b32 v13, v193 offset:5408                         // 000000005334: D81A1520 0000C10D
	ds_write_b32 v13, v194 offset:6528                         // 00000000533C: D81A1980 0000C20D
	ds_write_b32 v13, v195 offset:7584                         // 000000005344: D81A1DA0 0000C30D
	buffer_load_dword v40, v1, s[8:11], 0 idxen                // 00000000534C: E0502000 80022801
	buffer_load_dword v41, v2, s[8:11], 0 idxen                // 000000005354: E0502000 80022902
	buffer_load_dword v42, v3, s[8:11], 0 idxen                // 00000000535C: E0502000 80022A03
	buffer_load_dword v43, v4, s[8:11], 0 idxen                // 000000005364: E0502000 80022B04
	buffer_load_dword v48, v228, s[20:23], 0 idxen             // 00000000536C: E0502000 800530E4
	buffer_load_dword v49, v229, s[20:23], 0 idxen             // 000000005374: E0502000 800531E5
	buffer_load_dword v50, v230, s[20:23], 0 idxen             // 00000000537C: E0502000 800532E6
	buffer_load_dword v51, v231, s[20:23], 0 idxen             // 000000005384: E0502000 800533E7
	s_waitcnt lgkmcnt(0)                                       // 00000000538C: BF8CC07F
	s_barrier                                                  // 000000005390: BF8A0000
	ds_read_b128 a[80:83], v24                                 // 000000005394: DBFE0000 50000018
	ds_read_b128 a[84:87], v24 offset:512                      // 00000000539C: DBFE0200 54000018
	s_add_u32 s60, 64, s59                                     // 0000000053A4: 803C3BC0
	s_cmp_lt_u32 s60, s58                                      // 0000000053A8: BF0A3A3C
	s_cselect_b32 s68, s68, 0                                  // 0000000053AC: 85448044
	s_cselect_b32 s100, s100, 0                                // 0000000053B0: 85648064
	v_add_u32_e32 v1, s68, v1                                  // 0000000053B4: 68020244
	v_add_u32_e32 v2, s68, v2                                  // 0000000053B8: 68040444
	v_add_u32_e32 v3, s68, v3                                  // 0000000053BC: 68060644
	v_add_u32_e32 v4, s68, v4                                  // 0000000053C0: 68080844
	v_add_u32_e32 v228, s100, v228                             // 0000000053C4: 69C9C864
	v_add_u32_e32 v229, s100, v229                             // 0000000053C8: 69CBCA64
	v_add_u32_e32 v230, s100, v230                             // 0000000053CC: 69CDCC64
	v_add_u32_e32 v231, s100, v231                             // 0000000053D0: 69CFCE64
	s_waitcnt vmcnt(16) lgkmcnt(0)                             // 0000000053D4: BF8C4070
	s_barrier                                                  // 0000000053D8: BF8A0000
	s_cmp_lt_i32 2, s72                                        // 0000000053DC: BF044882
	s_cbranch_scc1 label_0501                                  // 0000000053E0: BF850008
	v_mov_b32_e32 v196, 0                                      // 0000000053E4: 7F880280
	v_mov_b32_e32 v197, 0                                      // 0000000053E8: 7F8A0280
	v_mov_b32_e32 v198, 0                                      // 0000000053EC: 7F8C0280
	v_mov_b32_e32 v199, 0                                      // 0000000053F0: 7F8E0280
	v_mov_b32_e32 v200, 0                                      // 0000000053F4: 7F900280
	v_mov_b32_e32 v201, 0                                      // 0000000053F8: 7F920280
	v_mov_b32_e32 v202, 0                                      // 0000000053FC: 7F940280
	v_mov_b32_e32 v203, 0                                      // 000000005400: 7F960280

0000000000005404 <label_0501>:
	ds_write_b32 v13, v196                                     // 000000005404: D81A0000 0000C40D
	ds_write_b32 v13, v197 offset:1056                         // 00000000540C: D81A0420 0000C50D
	ds_write_b32 v13, v198 offset:2176                         // 000000005414: D81A0880 0000C60D
	ds_write_b32 v13, v199 offset:3232                         // 00000000541C: D81A0CA0 0000C70D
	ds_write_b32 v13, v200 offset:4352                         // 000000005424: D81A1100 0000C80D
	ds_write_b32 v13, v201 offset:5408                         // 00000000542C: D81A1520 0000C90D
	ds_write_b32 v13, v202 offset:6528                         // 000000005434: D81A1980 0000CA0D
	ds_write_b32 v13, v203 offset:7584                         // 00000000543C: D81A1DA0 0000CB0D
	s_waitcnt lgkmcnt(0)                                       // 000000005444: BF8CC07F
	s_barrier                                                  // 000000005448: BF8A0000
	ds_read_b128 a[88:91], v24                                 // 00000000544C: DBFE0000 58000018
	ds_read_b128 a[92:95], v24 offset:512                      // 000000005454: DBFE0200 5C000018
	s_waitcnt vmcnt(8) lgkmcnt(0)                              // 00000000545C: BF8C0078
	s_barrier                                                  // 000000005460: BF8A0000
	buffer_load_dword v11, s[24:27], 0 idxen lds               // 000000005464: E0512000 8006000B
	s_mov_b32 m0, s79                                          // 00000000546C: BEFC004F
	v_add_u32_e32 v11, s69, v11                                // 000000005470: 68161645
	v_perm_b32 v100, v37, v36, s63                             // 000000005474: D1ED0064 00FE4925
	v_perm_b32 v101, v37, v36, s64                             // 00000000547C: D1ED0065 01024925
	v_perm_b32 v102, v39, v38, s63                             // 000000005484: D1ED0066 00FE4D27
	v_perm_b32 v103, v39, v38, s64                             // 00000000548C: D1ED0067 01024D27
	ds_write_b32 v15, v100 offset:4352                         // 000000005494: D81A1100 0000640F
	ds_write_b32 v15, v101 offset:5408                         // 00000000549C: D81A1520 0000650F
	ds_write_b32 v15, v102 offset:6528                         // 0000000054A4: D81A1980 0000660F
	ds_write_b32 v15, v103 offset:7584                         // 0000000054AC: D81A1DA0 0000670F
	ds_write_b32 v13, v36                                      // 0000000054B4: D81A0000 0000240D
	ds_write_b32 v13, v37 offset:1056                          // 0000000054BC: D81A0420 0000250D
	ds_write_b32 v13, v38 offset:2176                          // 0000000054C4: D81A0880 0000260D
	ds_write_b32 v13, v39 offset:3232                          // 0000000054CC: D81A0CA0 0000270D
	buffer_load_dword v11, s[24:27], 0 idxen lds               // 0000000054D4: E0512000 8006000B
	s_add_u32 s60, 64, s59                                     // 0000000054DC: 803C3BC0
	s_cmp_lt_u32 s60, s58                                      // 0000000054E0: BF0A3A3C
	s_cselect_b32 s69, s69, 0                                  // 0000000054E4: 85458045
	s_mov_b32 m0, s78                                          // 0000000054E8: BEFC004E
	v_add_u32_e32 v11, s69, v11                                // 0000000054EC: 68161645
	v_perm_b32 v104, v45, v44, s63                             // 0000000054F0: D1ED0068 00FE592D
	v_perm_b32 v105, v45, v44, s64                             // 0000000054F8: D1ED0069 0102592D
	v_perm_b32 v106, v47, v46, s63                             // 000000005500: D1ED006A 00FE5D2F
	v_perm_b32 v107, v47, v46, s64                             // 000000005508: D1ED006B 01025D2F
	ds_write_b32 v15, v104 offset:13056                        // 000000005510: D81A3300 0000680F
	ds_write_b32 v15, v105 offset:14112                        // 000000005518: D81A3720 0000690F
	ds_write_b32 v15, v106 offset:15232                        // 000000005520: D81A3B80 00006A0F
	ds_write_b32 v15, v107 offset:16288                        // 000000005528: D81A3FA0 00006B0F
	ds_write_b32 v13, v44 offset:8704                          // 000000005530: D81A2200 00002C0D
	ds_write_b32 v13, v45 offset:9760                          // 000000005538: D81A2620 00002D0D
	ds_write_b32 v13, v46 offset:10880                         // 000000005540: D81A2A80 00002E0D
	ds_write_b32 v13, v47 offset:11936                         // 000000005548: D81A2EA0 00002F0D
	s_waitcnt vmcnt(1) lgkmcnt(0)                              // 000000005550: BF8C0071
	s_barrier                                                  // 000000005554: BF8A0000
	ds_read_b128 a[96:99], v12                                 // 000000005558: DBFE0000 6000000C
	ds_read_b128 a[100:103], v12 offset:512                    // 000000005560: DBFE0200 6400000C
	ds_read_b128 a[104:107], v12 offset:2176                   // 000000005568: DBFE0880 6800000C
	ds_read_b128 a[108:111], v12 offset:2688                   // 000000005570: DBFE0A80 6C00000C
	ds_read_b128 v[108:111], v12 offset:8704                   // 000000005578: D9FE2200 6C00000C
	ds_read_b128 v[112:115], v12 offset:9216                   // 000000005580: D9FE2400 7000000C
	ds_read_b128 v[116:119], v12 offset:10880                  // 000000005588: D9FE2A80 7400000C
	ds_read_b128 v[120:123], v12 offset:11392                  // 000000005590: D9FE2C80 7800000C
	ds_read_b32 v140, v23 offset:39424                         // 000000005598: D86C9A00 8C000017
	ds_read_b32 v144, v23 offset:39488                         // 0000000055A0: D86C9A40 90000017
	ds_read_b32 v176, v23 offset:39680                         // 0000000055A8: D86C9B00 B0000017
	ds_read_b32 v177, v23 offset:39744                         // 0000000055B0: D86C9B40 B1000017
	v_accvgpr_write_b32 a112, 0                                // 0000000055B8: D3D94070 18000080
	v_mov_b32_e32 v180, 0                                      // 0000000055C0: 7F680280
	v_accvgpr_write_b32 a113, 0                                // 0000000055C4: D3D94071 18000080
	v_mov_b32_e32 v181, 0                                      // 0000000055CC: 7F6A0280
	v_accvgpr_write_b32 a114, 0                                // 0000000055D0: D3D94072 18000080
	v_mov_b32_e32 v182, 0                                      // 0000000055D8: 7F6C0280
	v_accvgpr_write_b32 a115, 0                                // 0000000055DC: D3D94073 18000080
	v_mov_b32_e32 v183, 0                                      // 0000000055E4: 7F6E0280
	v_accvgpr_write_b32 a116, 0                                // 0000000055E8: D3D94074 18000080
	v_mov_b32_e32 v184, 0                                      // 0000000055F0: 7F700280
	v_accvgpr_write_b32 a117, 0                                // 0000000055F4: D3D94075 18000080
	v_mov_b32_e32 v185, 0                                      // 0000000055FC: 7F720280
	v_accvgpr_write_b32 a118, 0                                // 000000005600: D3D94076 18000080
	v_mov_b32_e32 v186, 0                                      // 000000005608: 7F740280
	v_accvgpr_write_b32 a119, 0                                // 00000000560C: D3D94077 18000080
	v_mov_b32_e32 v187, 0                                      // 000000005614: 7F760280
	v_accvgpr_write_b32 a120, 0                                // 000000005618: D3D94078 18000080
	v_mov_b32_e32 v188, 0                                      // 000000005620: 7F780280
	v_accvgpr_write_b32 a121, 0                                // 000000005624: D3D94079 18000080
	v_mov_b32_e32 v189, 0                                      // 00000000562C: 7F7A0280
	v_accvgpr_write_b32 a122, 0                                // 000000005630: D3D9407A 18000080
	v_mov_b32_e32 v190, 0                                      // 000000005638: 7F7C0280
	v_accvgpr_write_b32 a123, 0                                // 00000000563C: D3D9407B 18000080
	v_mov_b32_e32 v191, 0                                      // 000000005644: 7F7E0280
	v_accvgpr_write_b32 a124, 0                                // 000000005648: D3D9407C 18000080
	v_mov_b32_e32 v192, 0                                      // 000000005650: 7F800280
	v_accvgpr_write_b32 a125, 0                                // 000000005654: D3D9407D 18000080
	v_mov_b32_e32 v193, 0                                      // 00000000565C: 7F820280
	v_accvgpr_write_b32 a126, 0                                // 000000005660: D3D9407E 18000080
	v_mov_b32_e32 v194, 0                                      // 000000005668: 7F840280
	v_accvgpr_write_b32 a127, 0                                // 00000000566C: D3D9407F 18000080
	v_mov_b32_e32 v195, 0                                      // 000000005674: 7F860280
	v_accvgpr_write_b32 a128, 0                                // 000000005678: D3D94080 18000080
	v_mov_b32_e32 v196, 0                                      // 000000005680: 7F880280
	v_accvgpr_write_b32 a129, 0                                // 000000005684: D3D94081 18000080
	v_mov_b32_e32 v197, 0                                      // 00000000568C: 7F8A0280
	v_accvgpr_write_b32 a130, 0                                // 000000005690: D3D94082 18000080
	v_mov_b32_e32 v198, 0                                      // 000000005698: 7F8C0280
	v_accvgpr_write_b32 a131, 0                                // 00000000569C: D3D94083 18000080
	v_mov_b32_e32 v199, 0                                      // 0000000056A4: 7F8E0280
	v_accvgpr_write_b32 a132, 0                                // 0000000056A8: D3D94084 18000080
	v_mov_b32_e32 v200, 0                                      // 0000000056B0: 7F900280
	v_accvgpr_write_b32 a133, 0                                // 0000000056B4: D3D94085 18000080
	v_mov_b32_e32 v201, 0                                      // 0000000056BC: 7F920280
	v_accvgpr_write_b32 a134, 0                                // 0000000056C0: D3D94086 18000080
	v_mov_b32_e32 v202, 0                                      // 0000000056C8: 7F940280
	v_accvgpr_write_b32 a135, 0                                // 0000000056CC: D3D94087 18000080
	v_mov_b32_e32 v203, 0                                      // 0000000056D4: 7F960280
	v_accvgpr_write_b32 a136, 0                                // 0000000056D8: D3D94088 18000080
	v_mov_b32_e32 v204, 0                                      // 0000000056E0: 7F980280
	v_accvgpr_write_b32 a137, 0                                // 0000000056E4: D3D94089 18000080
	v_mov_b32_e32 v205, 0                                      // 0000000056EC: 7F9A0280
	v_accvgpr_write_b32 a138, 0                                // 0000000056F0: D3D9408A 18000080
	v_mov_b32_e32 v206, 0                                      // 0000000056F8: 7F9C0280
	v_accvgpr_write_b32 a139, 0                                // 0000000056FC: D3D9408B 18000080
	v_mov_b32_e32 v207, 0                                      // 000000005704: 7F9E0280
	v_accvgpr_write_b32 a140, 0                                // 000000005708: D3D9408C 18000080
	v_mov_b32_e32 v208, 0                                      // 000000005710: 7FA00280
	v_accvgpr_write_b32 a141, 0                                // 000000005714: D3D9408D 18000080
	v_mov_b32_e32 v209, 0                                      // 00000000571C: 7FA20280
	v_accvgpr_write_b32 a142, 0                                // 000000005720: D3D9408E 18000080
	v_mov_b32_e32 v210, 0                                      // 000000005728: 7FA40280
	v_accvgpr_write_b32 a143, 0                                // 00000000572C: D3D9408F 18000080
	v_mov_b32_e32 v211, 0                                      // 000000005734: 7FA60280
	v_accvgpr_write_b32 a144, 0                                // 000000005738: D3D94090 18000080
	v_mov_b32_e32 v212, 0                                      // 000000005740: 7FA80280
	v_accvgpr_write_b32 a145, 0                                // 000000005744: D3D94091 18000080
	v_mov_b32_e32 v213, 0                                      // 00000000574C: 7FAA0280
	v_accvgpr_write_b32 a146, 0                                // 000000005750: D3D94092 18000080
	v_mov_b32_e32 v214, 0                                      // 000000005758: 7FAC0280
	v_accvgpr_write_b32 a147, 0                                // 00000000575C: D3D94093 18000080
	v_mov_b32_e32 v215, 0                                      // 000000005764: 7FAE0280
	v_accvgpr_write_b32 a148, 0                                // 000000005768: D3D94094 18000080
	v_mov_b32_e32 v216, 0                                      // 000000005770: 7FB00280
	v_accvgpr_write_b32 a149, 0                                // 000000005774: D3D94095 18000080
	v_mov_b32_e32 v217, 0                                      // 00000000577C: 7FB20280
	v_accvgpr_write_b32 a150, 0                                // 000000005780: D3D94096 18000080
	v_mov_b32_e32 v218, 0                                      // 000000005788: 7FB40280
	v_accvgpr_write_b32 a151, 0                                // 00000000578C: D3D94097 18000080
	v_mov_b32_e32 v219, 0                                      // 000000005794: 7FB60280
	v_accvgpr_write_b32 a152, 0                                // 000000005798: D3D94098 18000080
	v_mov_b32_e32 v220, 0                                      // 0000000057A0: 7FB80280
	v_accvgpr_write_b32 a153, 0                                // 0000000057A4: D3D94099 18000080
	v_mov_b32_e32 v221, 0                                      // 0000000057AC: 7FBA0280
	v_accvgpr_write_b32 a154, 0                                // 0000000057B0: D3D9409A 18000080
	v_mov_b32_e32 v222, 0                                      // 0000000057B8: 7FBC0280
	v_accvgpr_write_b32 a155, 0                                // 0000000057BC: D3D9409B 18000080
	v_mov_b32_e32 v223, 0                                      // 0000000057C4: 7FBE0280
	v_accvgpr_write_b32 a156, 0                                // 0000000057C8: D3D9409C 18000080
	v_mov_b32_e32 v224, 0                                      // 0000000057D0: 7FC00280
	v_accvgpr_write_b32 a157, 0                                // 0000000057D4: D3D9409D 18000080
	v_mov_b32_e32 v225, 0                                      // 0000000057DC: 7FC20280
	v_accvgpr_write_b32 a158, 0                                // 0000000057E0: D3D9409E 18000080
	v_mov_b32_e32 v226, 0                                      // 0000000057E8: 7FC40280
	v_accvgpr_write_b32 a159, 0                                // 0000000057EC: D3D9409F 18000080
	v_mov_b32_e32 v227, 0                                      // 0000000057F4: 7FC60280
	v_mov_b32_e32 v156, 0                                      // 0000000057F8: 7F380280
	v_mov_b32_e32 v157, 0                                      // 0000000057FC: 7F3A0280
	v_mov_b32_e32 v158, 0                                      // 000000005800: 7F3C0280
	v_mov_b32_e32 v159, 0                                      // 000000005804: 7F3E0280
	v_mov_b32_e32 v160, 0                                      // 000000005808: 7F400280
	v_mov_b32_e32 v161, 0                                      // 00000000580C: 7F420280
	v_mov_b32_e32 v162, 0                                      // 000000005810: 7F440280
	v_mov_b32_e32 v163, 0                                      // 000000005814: 7F460280
	v_mov_b32_e32 v148, 0                                      // 000000005818: 7F280280
	v_mov_b32_e32 v149, 0                                      // 00000000581C: 7F2A0280
	v_mov_b32_e32 v150, 0                                      // 000000005820: 7F2C0280
	v_mov_b32_e32 v151, 0                                      // 000000005824: 7F2E0280
	v_mov_b32_e32 v152, 0                                      // 000000005828: 7F300280
	v_mov_b32_e32 v153, 0                                      // 00000000582C: 7F320280
	v_mov_b32_e32 v154, 0                                      // 000000005830: 7F340280
	v_mov_b32_e32 v155, 0                                      // 000000005834: 7F360280
	s_waitcnt lgkmcnt(0)                                       // 000000005838: BF8CC07F
	s_barrier                                                  // 00000000583C: BF8A0000
	buffer_load_dword v36, v1, s[8:11], 0 idxen                // 000000005840: E0502000 80022401
	buffer_load_dword v37, v2, s[8:11], 0 idxen                // 000000005848: E0502000 80022502
	;; [unrolled: 1-line block ×4, first 2 shown]
	buffer_load_dword v44, v228, s[20:23], 0 idxen             // 000000005860: E0502000 80052CE4
	buffer_load_dword v45, v229, s[20:23], 0 idxen             // 000000005868: E0502000 80052DE5
	buffer_load_dword v46, v230, s[20:23], 0 idxen             // 000000005870: E0502000 80052EE6
	buffer_load_dword v47, v231, s[20:23], 0 idxen             // 000000005878: E0502000 80052FE7
	buffer_load_dword v11, s[24:27], 0 idxen lds               // 000000005880: E0512000 8006000B
	s_add_u32 s60, 0x60, s59                                   // 000000005888: 803C3BFF 00000060
	s_cmp_lt_u32 s60, s58                                      // 000000005890: BF0A3A3C
	s_cselect_b32 s68, s68, 0                                  // 000000005894: 85448044
	s_cselect_b32 s100, s100, 0                                // 000000005898: 85648064
	s_cselect_b32 s69, s69, 0                                  // 00000000589C: 85458045
	s_mov_b32 m0, s79                                          // 0000000058A0: BEFC004F
	v_add_u32_e32 v11, s69, v11                                // 0000000058A4: 68161645
	v_add_u32_e32 v1, s68, v1                                  // 0000000058A8: 68020244
	v_add_u32_e32 v2, s68, v2                                  // 0000000058AC: 68040444
	v_add_u32_e32 v3, s68, v3                                  // 0000000058B0: 68060644
	v_add_u32_e32 v4, s68, v4                                  // 0000000058B4: 68080844
	v_add_u32_e32 v228, s100, v228                             // 0000000058B8: 69C9C864
	v_add_u32_e32 v229, s100, v229                             // 0000000058BC: 69CBCA64
	v_add_u32_e32 v230, s100, v230                             // 0000000058C0: 69CDCC64
	v_add_u32_e32 v231, s100, v231                             // 0000000058C4: 69CFCE64
	v_mul_f32_e32 v140, s48, v140                              // 0000000058C8: 0B191830
	v_mul_f32_e32 v144, s48, v144                              // 0000000058CC: 0B212030
	v_perm_b32 v100, v41, v40, s63                             // 0000000058D0: D1ED0064 00FE5129
	v_perm_b32 v101, v41, v40, s64                             // 0000000058D8: D1ED0065 01025129
	v_perm_b32 v102, v43, v42, s63                             // 0000000058E0: D1ED0066 00FE552B
	v_perm_b32 v103, v43, v42, s64                             // 0000000058E8: D1ED0067 0102552B
	v_perm_b32 v104, v49, v48, s63                             // 0000000058F0: D1ED0068 00FE6131
	v_perm_b32 v105, v49, v48, s64                             // 0000000058F8: D1ED0069 01026131
	v_perm_b32 v106, v51, v50, s63                             // 000000005900: D1ED006A 00FE6533
	v_perm_b32 v107, v51, v50, s64                             // 000000005908: D1ED006B 01026533
	v_mov_b32_dpp v143, v140 quad_perm:[3,3,3,3] row_mask:0xf bank_mask:0xf// 000000005910: 7F1E02FA FF00FF8C
	v_mov_b32_dpp v142, v140 quad_perm:[2,2,2,2] row_mask:0xf bank_mask:0xf// 000000005918: 7F1C02FA FF00AA8C
	v_mov_b32_dpp v141, v140 quad_perm:[1,1,1,1] row_mask:0xf bank_mask:0xf// 000000005920: 7F1A02FA FF00558C
	v_mov_b32_dpp v140, v140 quad_perm:[0,0,0,0] row_mask:0xf bank_mask:0xf// 000000005928: 7F1802FA FF00008C
	v_mov_b32_dpp v147, v144 quad_perm:[3,3,3,3] row_mask:0xf bank_mask:0xf// 000000005930: 7F2602FA FF00FF90
	v_mov_b32_dpp v146, v144 quad_perm:[2,2,2,2] row_mask:0xf bank_mask:0xf// 000000005938: 7F2402FA FF00AA90
	v_mov_b32_dpp v145, v144 quad_perm:[1,1,1,1] row_mask:0xf bank_mask:0xf// 000000005940: 7F2202FA FF005590
	v_mov_b32_dpp v144, v144 quad_perm:[0,0,0,0] row_mask:0xf bank_mask:0xf// 000000005948: 7F2002FA FF000090
	s_waitcnt vmcnt(9)                                         // 000000005950: BF8C0F79
	s_barrier                                                  // 000000005954: BF8A0000
	s_cmp_lt_i32 s46, 2                                        // 000000005958: BF04822E
	s_cbranch_scc0 label_0EC4                                  // 00000000595C: BF84085A
	s_nop 0                                                    // 000000005960: BF800000
	s_nop 0                                                    // 000000005964: BF800000

0000000000005968 <label_065A>:
	s_waitcnt lgkmcnt(4)                                       // 000000005968: BF8CC47F
	s_barrier                                                  // 00000000596C: BF8A0000
	v_mfma_f32_16x16x16_f16 v[52:55], a[96:97], a[0:1], 0      // 000000005970: D3CD0034 1A020160
	ds_write_b32 v13, v48 offset:8704                          // 000000005978: D81A2200 0000300D
	ds_write_b32 v13, v49 offset:9760                          // 000000005980: D81A2620 0000310D
	v_mfma_f32_16x16x16_f16 v[52:55], a[98:99], a[2:3], v[52:55]// 000000005988: D3CD0034 1CD20562
	v_mul_f32_e32 v148, s47, v148                              // 000000005990: 0B29282F
	v_mul_f32_e32 v149, s47, v149                              // 000000005994: 0B2B2A2F
	v_mfma_f32_16x16x16_f16 v[52:55], a[100:101], a[4:5], v[52:55]// 000000005998: D3CD0034 1CD20964
	ds_write_b32 v13, v50 offset:10880                         // 0000000059A0: D81A2A80 0000320D
	ds_write_b32 v13, v51 offset:11936                         // 0000000059A8: D81A2EA0 0000330D
	v_mfma_f32_16x16x16_f16 v[52:55], a[102:103], a[6:7], v[52:55]// 0000000059B0: D3CD0034 1CD20D66
	v_mul_f32_e32 v150, s47, v150                              // 0000000059B8: 0B2D2C2F
	v_mul_f32_e32 v151, s47, v151                              // 0000000059BC: 0B2F2E2F
	v_mfma_f32_16x16x16_f16 v[56:59], a[96:97], a[8:9], 0      // 0000000059C0: D3CD0038 1A021160
	ds_write_b64 v22, v[148:149] offset:31232                  // 0000000059C8: D89A7A00 00009416
	v_mfma_f32_16x16x16_f16 v[56:59], a[98:99], a[10:11], v[56:59]// 0000000059D0: D3CD0038 1CE21562
	v_mul_f32_e32 v152, s47, v152                              // 0000000059D8: 0B31302F
	v_mul_f32_e32 v153, s47, v153                              // 0000000059DC: 0B33322F
	v_mfma_f32_16x16x16_f16 v[56:59], a[100:101], a[12:13], v[56:59]// 0000000059E0: D3CD0038 1CE21964
	ds_write_b64 v22, v[150:151] offset:31744                  // 0000000059E8: D89A7C00 00009616
	v_mfma_f32_16x16x16_f16 v[56:59], a[102:103], a[14:15], v[56:59]// 0000000059F0: D3CD0038 1CE21D66
	v_mul_f32_e32 v154, s47, v154                              // 0000000059F8: 0B35342F
	v_mul_f32_e32 v155, s47, v155                              // 0000000059FC: 0B37362F
	v_mfma_f32_16x16x16_f16 v[60:63], a[96:97], a[16:17], 0    // 000000005A00: D3CD003C 1A022160
	ds_write_b64 v22, v[152:153] offset:32256                  // 000000005A08: D89A7E00 00009816
	v_mfma_f32_16x16x16_f16 v[60:63], a[98:99], a[18:19], v[60:63]// 000000005A10: D3CD003C 1CF22562
	buffer_atomic_add_f32 v160, v8, s[32:35], 0 idxen          // 000000005A18: E1342000 8008A008
	v_mfma_f32_16x16x16_f16 v[60:63], a[100:101], a[20:21], v[60:63]// 000000005A20: D3CD003C 1CF22964
	ds_write_b64 v22, v[154:155] offset:32768                  // 000000005A28: D89A8000 00009A16
	v_mfma_f32_16x16x16_f16 v[60:63], a[102:103], a[22:23], v[60:63]// 000000005A30: D3CD003C 1CF22D66
	v_mfma_f32_16x16x16_f16 v[64:67], a[104:105], a[0:1], 0    // 000000005A38: D3CD0040 1A020168
	ds_read_b128 v[124:127], v14 offset:13056                  // 000000005A40: D9FE3300 7C00000E
	ds_write_b32 v13, v40                                      // 000000005A48: D81A0000 0000280D
	v_mfma_f32_16x16x16_f16 v[64:67], a[106:107], a[2:3], v[64:67]// 000000005A50: D3CD0040 1D02056A
	buffer_atomic_add_f32 v161, v9, s[32:35], 0 idxen          // 000000005A58: E1342000 8008A109
	v_mfma_f32_16x16x16_f16 v[64:67], a[108:109], a[4:5], v[64:67]// 000000005A60: D3CD0040 1D02096C
	v_mfma_f32_16x16x16_f16 v[64:67], a[110:111], a[6:7], v[64:67]// 000000005A68: D3CD0040 1D020D6E
	ds_read_b128 v[128:131], v14 offset:13568                  // 000000005A70: D9FE3500 8000000E
	ds_write_b32 v13, v41 offset:1056                          // 000000005A78: D81A0420 0000290D
	v_mfma_f32_16x16x16_f16 v[68:71], a[104:105], a[8:9], 0    // 000000005A80: D3CD0044 1A021168
	buffer_atomic_add_f32 v162, v8, s[32:35], 0 idxen offset:128// 000000005A88: E1342080 8008A208
	v_mfma_f32_16x16x16_f16 v[68:71], a[106:107], a[10:11], v[68:71]// 000000005A90: D3CD0044 1D12156A
	v_mfma_f32_16x16x16_f16 v[68:71], a[108:109], a[12:13], v[68:71]// 000000005A98: D3CD0044 1D12196C
	ds_read_b128 v[132:135], v14 offset:15232                  // 000000005AA0: D9FE3B80 8400000E
	ds_write_b32 v13, v42 offset:2176                          // 000000005AA8: D81A0880 00002A0D
	v_mfma_f32_16x16x16_f16 v[68:71], a[110:111], a[14:15], v[68:71]// 000000005AB0: D3CD0044 1D121D6E
	v_mfma_f32_16x16x16_f16 v[72:75], a[104:105], a[16:17], 0  // 000000005AB8: D3CD0048 1A022168
	buffer_atomic_add_f32 v163, v9, s[32:35], 0 idxen offset:128// 000000005AC0: E1342080 8008A309
	v_mfma_f32_16x16x16_f16 v[72:75], a[106:107], a[18:19], v[72:75]// 000000005AC8: D3CD0048 1D22256A
	ds_read_b128 v[136:139], v14 offset:15744                  // 000000005AD0: D9FE3D80 8800000E
	ds_write_b32 v13, v43 offset:3232                          // 000000005AD8: D81A0CA0 00002B0D
	v_mfma_f32_16x16x16_f16 v[72:75], a[108:109], a[20:21], v[72:75]// 000000005AE0: D3CD0048 1D22296C
	v_mfma_f32_16x16x16_f16 v[72:75], a[110:111], a[22:23], v[72:75]// 000000005AE8: D3CD0048 1D222D6E
	s_cmp_lt_i32 s74, 12                                       // 000000005AF0: BF048C4A
	s_cbranch_scc0 label_07A4                                  // 000000005AF4: BF8400E6
	s_mov_b32 s60, 0xffe0fffe                                  // 000000005AF8: BEBC00FF FFE0FFFE
	s_mov_b32 s61, 0xe000fe00                                  // 000000005B00: BEBD00FF E000FE00
	s_nop 0                                                    // 000000005B08: BF800000
	s_add_u32 s62, 0, s46                                      // 000000005B0C: 803E2E80
	s_cmp_lt_i32 s74, s62                                      // 000000005B10: BF043E4A
	s_cbranch_scc1 label_06EE                                  // 000000005B14: BF850028
	s_cmp_eq_i32 s74, s62                                      // 000000005B18: BF003E4A
	s_cbranch_scc1 label_06D3                                  // 000000005B1C: BF85000B
	s_add_u32 s62, 4, s46                                      // 000000005B20: 803E2E84
	s_cmp_lt_i32 s74, s62                                      // 000000005B24: BF043E4A
	s_cbranch_scc1 label_070E                                  // 000000005B28: BF850043
	s_cmp_eq_i32 s74, s62                                      // 000000005B2C: BF003E4A
	s_cbranch_scc1 label_06F3                                  // 000000005B30: BF850026
	s_add_u32 s62, 8, s46                                      // 000000005B34: 803E2E88
	s_cmp_lt_i32 s74, s62                                      // 000000005B38: BF043E4A
	s_cbranch_scc1 label_072E                                  // 000000005B3C: BF85005E
	s_cmp_eq_i32 s74, s62                                      // 000000005B40: BF003E4A
	s_cbranch_scc1 label_0713                                  // 000000005B44: BF850041
	s_branch label_0733                                        // 000000005B48: BF820060

0000000000005b4c <label_06D3>:
	v_cndmask_b32_e64 v52, v52, v178, s[60:61]                 // 000000005B4C: D1000034 00F36534
	s_lshl_b32 s60, s60, 1                                     // 000000005B54: 8E3C813C
	s_lshl_b32 s61, s61, 1                                     // 000000005B58: 8E3D813D
	s_and_b32 s60, 0xfffeffff, s60                             // 000000005B5C: 863C3CFF FFFEFFFF
	s_and_b32 s61, 0xfffeffff, s61                             // 000000005B64: 863D3DFF FFFEFFFF
	v_cndmask_b32_e64 v53, v53, v178, s[60:61]                 // 000000005B6C: D1000035 00F36535
	s_lshl_b32 s60, s60, 1                                     // 000000005B74: 8E3C813C
	s_lshl_b32 s61, s61, 1                                     // 000000005B78: 8E3D813D
	s_and_b32 s60, 0xfffeffff, s60                             // 000000005B7C: 863C3CFF FFFEFFFF
	s_and_b32 s61, 0xfffeffff, s61                             // 000000005B84: 863D3DFF FFFEFFFF
	v_cndmask_b32_e64 v54, v54, v178, s[60:61]                 // 000000005B8C: D1000036 00F36536
	s_lshl_b32 s60, s60, 1                                     // 000000005B94: 8E3C813C
	s_lshl_b32 s61, s61, 1                                     // 000000005B98: 8E3D813D
	s_and_b32 s60, 0xfffeffff, s60                             // 000000005B9C: 863C3CFF FFFEFFFF
	s_and_b32 s61, 0xfffeffff, s61                             // 000000005BA4: 863D3DFF FFFEFFFF
	v_cndmask_b32_e64 v55, v55, v178, s[60:61]                 // 000000005BAC: D1000037 00F36537
	s_branch label_070E                                        // 000000005BB4: BF820020

0000000000005bb8 <label_06EE>:
	v_mov_b32_e32 v52, v178                                    // 000000005BB8: 7E6803B2
	v_mov_b32_e32 v53, v178                                    // 000000005BBC: 7E6A03B2
	v_mov_b32_e32 v54, v178                                    // 000000005BC0: 7E6C03B2
	v_mov_b32_e32 v55, v178                                    // 000000005BC4: 7E6E03B2
	s_branch label_070E                                        // 000000005BC8: BF82001B

0000000000005bcc <label_06F3>:
	v_cndmask_b32_e64 v56, v56, v178, s[60:61]                 // 000000005BCC: D1000038 00F36538
	s_lshl_b32 s60, s60, 1                                     // 000000005BD4: 8E3C813C
	s_lshl_b32 s61, s61, 1                                     // 000000005BD8: 8E3D813D
	s_and_b32 s60, 0xfffeffff, s60                             // 000000005BDC: 863C3CFF FFFEFFFF
	s_and_b32 s61, 0xfffeffff, s61                             // 000000005BE4: 863D3DFF FFFEFFFF
	v_cndmask_b32_e64 v57, v57, v178, s[60:61]                 // 000000005BEC: D1000039 00F36539
	s_lshl_b32 s60, s60, 1                                     // 000000005BF4: 8E3C813C
	s_lshl_b32 s61, s61, 1                                     // 000000005BF8: 8E3D813D
	s_and_b32 s60, 0xfffeffff, s60                             // 000000005BFC: 863C3CFF FFFEFFFF
	s_and_b32 s61, 0xfffeffff, s61                             // 000000005C04: 863D3DFF FFFEFFFF
	v_cndmask_b32_e64 v58, v58, v178, s[60:61]                 // 000000005C0C: D100003A 00F3653A
	s_lshl_b32 s60, s60, 1                                     // 000000005C14: 8E3C813C
	s_lshl_b32 s61, s61, 1                                     // 000000005C18: 8E3D813D
	s_and_b32 s60, 0xfffeffff, s60                             // 000000005C1C: 863C3CFF FFFEFFFF
	s_and_b32 s61, 0xfffeffff, s61                             // 000000005C24: 863D3DFF FFFEFFFF
	v_cndmask_b32_e64 v59, v59, v178, s[60:61]                 // 000000005C2C: D100003B 00F3653B
	s_branch label_072E                                        // 000000005C34: BF820020

0000000000005c38 <label_070E>:
	v_mov_b32_e32 v56, v178                                    // 000000005C38: 7E7003B2
	v_mov_b32_e32 v57, v178                                    // 000000005C3C: 7E7203B2
	v_mov_b32_e32 v58, v178                                    // 000000005C40: 7E7403B2
	v_mov_b32_e32 v59, v178                                    // 000000005C44: 7E7603B2
	s_branch label_072E                                        // 000000005C48: BF82001B

0000000000005c4c <label_0713>:
	v_cndmask_b32_e64 v60, v60, v178, s[60:61]                 // 000000005C4C: D100003C 00F3653C
	s_lshl_b32 s60, s60, 1                                     // 000000005C54: 8E3C813C
	s_lshl_b32 s61, s61, 1                                     // 000000005C58: 8E3D813D
	s_and_b32 s60, 0xfffeffff, s60                             // 000000005C5C: 863C3CFF FFFEFFFF
	s_and_b32 s61, 0xfffeffff, s61                             // 000000005C64: 863D3DFF FFFEFFFF
	v_cndmask_b32_e64 v61, v61, v178, s[60:61]                 // 000000005C6C: D100003D 00F3653D
	s_lshl_b32 s60, s60, 1                                     // 000000005C74: 8E3C813C
	s_lshl_b32 s61, s61, 1                                     // 000000005C78: 8E3D813D
	s_and_b32 s60, 0xfffeffff, s60                             // 000000005C7C: 863C3CFF FFFEFFFF
	s_and_b32 s61, 0xfffeffff, s61                             // 000000005C84: 863D3DFF FFFEFFFF
	v_cndmask_b32_e64 v62, v62, v178, s[60:61]                 // 000000005C8C: D100003E 00F3653E
	s_lshl_b32 s60, s60, 1                                     // 000000005C94: 8E3C813C
	s_lshl_b32 s61, s61, 1                                     // 000000005C98: 8E3D813D
	s_and_b32 s60, 0xfffeffff, s60                             // 000000005C9C: 863C3CFF FFFEFFFF
	s_and_b32 s61, 0xfffeffff, s61                             // 000000005CA4: 863D3DFF FFFEFFFF
	v_cndmask_b32_e64 v63, v63, v178, s[60:61]                 // 000000005CAC: D100003F 00F3653F
	s_branch label_0733                                        // 000000005CB4: BF820005

0000000000005cb8 <label_072E>:
	v_mov_b32_e32 v60, v178                                    // 000000005CB8: 7E7803B2
	v_mov_b32_e32 v61, v178                                    // 000000005CBC: 7E7A03B2
	v_mov_b32_e32 v62, v178                                    // 000000005CC0: 7E7C03B2
	v_mov_b32_e32 v63, v178                                    // 000000005CC4: 7E7E03B2
	s_branch label_0733                                        // 000000005CC8: BF820000

0000000000005ccc <label_0733>:
	s_addk_i32 s74, 0x1                                        // 000000005CCC: B74A0001
	s_add_u32 s62, 0, s46                                      // 000000005CD0: 803E2E80
	s_cmp_lt_i32 s74, s62                                      // 000000005CD4: BF043E4A
	s_cbranch_scc1 label_075F                                  // 000000005CD8: BF850028
	s_cmp_eq_i32 s74, s62                                      // 000000005CDC: BF003E4A
	s_cbranch_scc1 label_0744                                  // 000000005CE0: BF85000B
	s_add_u32 s62, 4, s46                                      // 000000005CE4: 803E2E84
	s_cmp_lt_i32 s74, s62                                      // 000000005CE8: BF043E4A
	s_cbranch_scc1 label_077F                                  // 000000005CEC: BF850043
	s_cmp_eq_i32 s74, s62                                      // 000000005CF0: BF003E4A
	s_cbranch_scc1 label_0764                                  // 000000005CF4: BF850026
	s_add_u32 s62, 8, s46                                      // 000000005CF8: 803E2E88
	s_cmp_lt_i32 s74, s62                                      // 000000005CFC: BF043E4A
	s_cbranch_scc1 label_079F                                  // 000000005D00: BF85005E
	s_cmp_eq_i32 s74, s62                                      // 000000005D04: BF003E4A
	s_cbranch_scc1 label_0784                                  // 000000005D08: BF850041
	s_branch label_07A4                                        // 000000005D0C: BF820060

0000000000005d10 <label_0744>:
	v_cndmask_b32_e64 v64, v64, v178, s[60:61]                 // 000000005D10: D1000040 00F36540
	s_lshl_b32 s60, s60, 1                                     // 000000005D18: 8E3C813C
	s_lshl_b32 s61, s61, 1                                     // 000000005D1C: 8E3D813D
	s_and_b32 s60, 0xfffeffff, s60                             // 000000005D20: 863C3CFF FFFEFFFF
	s_and_b32 s61, 0xfffeffff, s61                             // 000000005D28: 863D3DFF FFFEFFFF
	v_cndmask_b32_e64 v65, v65, v178, s[60:61]                 // 000000005D30: D1000041 00F36541
	s_lshl_b32 s60, s60, 1                                     // 000000005D38: 8E3C813C
	s_lshl_b32 s61, s61, 1                                     // 000000005D3C: 8E3D813D
	s_and_b32 s60, 0xfffeffff, s60                             // 000000005D40: 863C3CFF FFFEFFFF
	s_and_b32 s61, 0xfffeffff, s61                             // 000000005D48: 863D3DFF FFFEFFFF
	v_cndmask_b32_e64 v66, v66, v178, s[60:61]                 // 000000005D50: D1000042 00F36542
	s_lshl_b32 s60, s60, 1                                     // 000000005D58: 8E3C813C
	s_lshl_b32 s61, s61, 1                                     // 000000005D5C: 8E3D813D
	s_and_b32 s60, 0xfffeffff, s60                             // 000000005D60: 863C3CFF FFFEFFFF
	s_and_b32 s61, 0xfffeffff, s61                             // 000000005D68: 863D3DFF FFFEFFFF
	v_cndmask_b32_e64 v67, v67, v178, s[60:61]                 // 000000005D70: D1000043 00F36543
	s_branch label_077F                                        // 000000005D78: BF820020

0000000000005d7c <label_075F>:
	v_mov_b32_e32 v64, v178                                    // 000000005D7C: 7E8003B2
	v_mov_b32_e32 v65, v178                                    // 000000005D80: 7E8203B2
	v_mov_b32_e32 v66, v178                                    // 000000005D84: 7E8403B2
	v_mov_b32_e32 v67, v178                                    // 000000005D88: 7E8603B2
	s_branch label_077F                                        // 000000005D8C: BF82001B

0000000000005d90 <label_0764>:
	v_cndmask_b32_e64 v68, v68, v178, s[60:61]                 // 000000005D90: D1000044 00F36544
	s_lshl_b32 s60, s60, 1                                     // 000000005D98: 8E3C813C
	s_lshl_b32 s61, s61, 1                                     // 000000005D9C: 8E3D813D
	s_and_b32 s60, 0xfffeffff, s60                             // 000000005DA0: 863C3CFF FFFEFFFF
	s_and_b32 s61, 0xfffeffff, s61                             // 000000005DA8: 863D3DFF FFFEFFFF
	v_cndmask_b32_e64 v69, v69, v178, s[60:61]                 // 000000005DB0: D1000045 00F36545
	s_lshl_b32 s60, s60, 1                                     // 000000005DB8: 8E3C813C
	s_lshl_b32 s61, s61, 1                                     // 000000005DBC: 8E3D813D
	s_and_b32 s60, 0xfffeffff, s60                             // 000000005DC0: 863C3CFF FFFEFFFF
	s_and_b32 s61, 0xfffeffff, s61                             // 000000005DC8: 863D3DFF FFFEFFFF
	v_cndmask_b32_e64 v70, v70, v178, s[60:61]                 // 000000005DD0: D1000046 00F36546
	s_lshl_b32 s60, s60, 1                                     // 000000005DD8: 8E3C813C
	s_lshl_b32 s61, s61, 1                                     // 000000005DDC: 8E3D813D
	s_and_b32 s60, 0xfffeffff, s60                             // 000000005DE0: 863C3CFF FFFEFFFF
	s_and_b32 s61, 0xfffeffff, s61                             // 000000005DE8: 863D3DFF FFFEFFFF
	v_cndmask_b32_e64 v71, v71, v178, s[60:61]                 // 000000005DF0: D1000047 00F36547
	s_branch label_079F                                        // 000000005DF8: BF820020

0000000000005dfc <label_077F>:
	v_mov_b32_e32 v68, v178                                    // 000000005DFC: 7E8803B2
	v_mov_b32_e32 v69, v178                                    // 000000005E00: 7E8A03B2
	v_mov_b32_e32 v70, v178                                    // 000000005E04: 7E8C03B2
	v_mov_b32_e32 v71, v178                                    // 000000005E08: 7E8E03B2
	s_branch label_079F                                        // 000000005E0C: BF82001B

0000000000005e10 <label_0784>:
	v_cndmask_b32_e64 v72, v72, v178, s[60:61]                 // 000000005E10: D1000048 00F36548
	s_lshl_b32 s60, s60, 1                                     // 000000005E18: 8E3C813C
	s_lshl_b32 s61, s61, 1                                     // 000000005E1C: 8E3D813D
	s_and_b32 s60, 0xfffeffff, s60                             // 000000005E20: 863C3CFF FFFEFFFF
	s_and_b32 s61, 0xfffeffff, s61                             // 000000005E28: 863D3DFF FFFEFFFF
	v_cndmask_b32_e64 v73, v73, v178, s[60:61]                 // 000000005E30: D1000049 00F36549
	s_lshl_b32 s60, s60, 1                                     // 000000005E38: 8E3C813C
	s_lshl_b32 s61, s61, 1                                     // 000000005E3C: 8E3D813D
	s_and_b32 s60, 0xfffeffff, s60                             // 000000005E40: 863C3CFF FFFEFFFF
	s_and_b32 s61, 0xfffeffff, s61                             // 000000005E48: 863D3DFF FFFEFFFF
	v_cndmask_b32_e64 v74, v74, v178, s[60:61]                 // 000000005E50: D100004A 00F3654A
	s_lshl_b32 s60, s60, 1                                     // 000000005E58: 8E3C813C
	s_lshl_b32 s61, s61, 1                                     // 000000005E5C: 8E3D813D
	s_and_b32 s60, 0xfffeffff, s60                             // 000000005E60: 863C3CFF FFFEFFFF
	s_and_b32 s61, 0xfffeffff, s61                             // 000000005E68: 863D3DFF FFFEFFFF
	v_cndmask_b32_e64 v75, v75, v178, s[60:61]                 // 000000005E70: D100004B 00F3654B
	s_branch label_07A4                                        // 000000005E78: BF820005

0000000000005e7c <label_079F>:
	v_mov_b32_e32 v72, v178                                    // 000000005E7C: 7E9003B2
	v_mov_b32_e32 v73, v178                                    // 000000005E80: 7E9203B2
	v_mov_b32_e32 v74, v178                                    // 000000005E84: 7E9403B2
	v_mov_b32_e32 v75, v178                                    // 000000005E88: 7E9603B2
	s_branch label_07A4                                        // 000000005E8C: BF820000

0000000000005e90 <label_07A4>:
	s_cmp_lt_i32 s84, 0xc0                                     // 000000005E90: BF04FF54 000000C0
	s_cbranch_scc0 label_081D                                  // 000000005E98: BF84006D
	s_cmp_le_i32 s84, 64                                       // 000000005E9C: BF05C054
	s_cbranch_scc1 label_07B0                                  // 000000005EA0: BF850007
	s_cmp_le_i32 s84, 0x80                                     // 000000005EA4: BF05FF54 00000080
	s_cbranch_scc1 label_07D4                                  // 000000005EAC: BF85001F
	s_cmp_lt_i32 s84, 0xc0                                     // 000000005EB0: BF04FF54 000000C0
	s_cbranch_scc1 label_07F8                                  // 000000005EB8: BF850040
	s_branch label_081D                                        // 000000005EBC: BF820064

0000000000005ec0 <label_07B0>:
	s_mov_b32 s60, 0                                           // 000000005EC0: BEBC0080
	v_and_b32_e32 v32, 15, v0                                  // 000000005EC4: 2640008F
	v_add_u32_e64 v32, v32, s60                                // 000000005EC8: D1340020 00007920
	v_mul_i32_i24_e64 v33, s46, 16                             // 000000005ED0: D1060021 0001202E
	v_add_u32_e32 v32, v32, v33                                // 000000005ED8: 68404320
	v_cmp_lt_u32_e64 s[60:61], v32, s84                        // 000000005EDC: D0C9003C 0000A920
	s_nop 1                                                    // 000000005EE4: BF800001
	v_cndmask_b32_e64 v52, v178, v52, s[60:61]                 // 000000005EE8: D1000034 00F269B2
	v_cndmask_b32_e64 v64, v178, v64, s[60:61]                 // 000000005EF0: D1000040 00F281B2
	v_cndmask_b32_e64 v53, v178, v53, s[60:61]                 // 000000005EF8: D1000035 00F26BB2
	v_cndmask_b32_e64 v65, v178, v65, s[60:61]                 // 000000005F00: D1000041 00F283B2
	v_cndmask_b32_e64 v54, v178, v54, s[60:61]                 // 000000005F08: D1000036 00F26DB2
	v_cndmask_b32_e64 v66, v178, v66, s[60:61]                 // 000000005F10: D1000042 00F285B2
	v_cndmask_b32_e64 v55, v178, v55, s[60:61]                 // 000000005F18: D1000037 00F26FB2
	v_cndmask_b32_e64 v67, v178, v67, s[60:61]                 // 000000005F20: D1000043 00F287B2
	s_branch label_07EF                                        // 000000005F28: BF82001B

0000000000005f2c <label_07D4>:
	s_mov_b32 s60, 64                                          // 000000005F2C: BEBC00C0
	v_and_b32_e32 v32, 15, v0                                  // 000000005F30: 2640008F
	v_add_u32_e64 v32, v32, s60                                // 000000005F34: D1340020 00007920
	v_mul_i32_i24_e64 v33, s46, 16                             // 000000005F3C: D1060021 0001202E
	v_add_u32_e32 v32, v32, v33                                // 000000005F44: 68404320
	v_cmp_lt_u32_e64 s[60:61], v32, s84                        // 000000005F48: D0C9003C 0000A920
	s_nop 1                                                    // 000000005F50: BF800001
	v_cndmask_b32_e64 v56, v178, v56, s[60:61]                 // 000000005F54: D1000038 00F271B2
	v_cndmask_b32_e64 v68, v178, v68, s[60:61]                 // 000000005F5C: D1000044 00F289B2
	v_cndmask_b32_e64 v57, v178, v57, s[60:61]                 // 000000005F64: D1000039 00F273B2
	v_cndmask_b32_e64 v69, v178, v69, s[60:61]                 // 000000005F6C: D1000045 00F28BB2
	v_cndmask_b32_e64 v58, v178, v58, s[60:61]                 // 000000005F74: D100003A 00F275B2
	v_cndmask_b32_e64 v70, v178, v70, s[60:61]                 // 000000005F7C: D1000046 00F28DB2
	v_cndmask_b32_e64 v59, v178, v59, s[60:61]                 // 000000005F84: D100003B 00F277B2
	v_cndmask_b32_e64 v71, v178, v71, s[60:61]                 // 000000005F8C: D1000047 00F28FB2
	s_branch label_0814                                        // 000000005F94: BF820025

0000000000005f98 <label_07EF>:
	v_mov_b32_e32 v56, v178                                    // 000000005F98: 7E7003B2
	v_mov_b32_e32 v68, v178                                    // 000000005F9C: 7E8803B2
	v_mov_b32_e32 v57, v178                                    // 000000005FA0: 7E7203B2
	v_mov_b32_e32 v69, v178                                    // 000000005FA4: 7E8A03B2
	v_mov_b32_e32 v58, v178                                    // 000000005FA8: 7E7403B2
	v_mov_b32_e32 v70, v178                                    // 000000005FAC: 7E8C03B2
	v_mov_b32_e32 v59, v178                                    // 000000005FB0: 7E7603B2
	v_mov_b32_e32 v71, v178                                    // 000000005FB4: 7E8E03B2
	s_branch label_0814                                        // 000000005FB8: BF82001C

0000000000005fbc <label_07F8>:
	s_mov_b32 s60, 0x80                                        // 000000005FBC: BEBC00FF 00000080
	v_and_b32_e32 v32, 15, v0                                  // 000000005FC4: 2640008F
	v_add_u32_e64 v32, v32, s60                                // 000000005FC8: D1340020 00007920
	v_mul_i32_i24_e64 v33, s46, 16                             // 000000005FD0: D1060021 0001202E
	v_add_u32_e32 v32, v32, v33                                // 000000005FD8: 68404320
	v_cmp_lt_u32_e64 s[60:61], v32, s84                        // 000000005FDC: D0C9003C 0000A920
	s_nop 1                                                    // 000000005FE4: BF800001
	v_cndmask_b32_e64 v60, v178, v60, s[60:61]                 // 000000005FE8: D100003C 00F279B2
	v_cndmask_b32_e64 v72, v178, v72, s[60:61]                 // 000000005FF0: D1000048 00F291B2
	v_cndmask_b32_e64 v61, v178, v61, s[60:61]                 // 000000005FF8: D100003D 00F27BB2
	v_cndmask_b32_e64 v73, v178, v73, s[60:61]                 // 000000006000: D1000049 00F293B2
	v_cndmask_b32_e64 v62, v178, v62, s[60:61]                 // 000000006008: D100003E 00F27DB2
	v_cndmask_b32_e64 v74, v178, v74, s[60:61]                 // 000000006010: D100004A 00F295B2
	v_cndmask_b32_e64 v63, v178, v63, s[60:61]                 // 000000006018: D100003F 00F27FB2
	v_cndmask_b32_e64 v75, v178, v75, s[60:61]                 // 000000006020: D100004B 00F297B2
	s_branch label_081D                                        // 000000006028: BF820009

000000000000602c <label_0814>:
	v_mov_b32_e32 v60, v178                                    // 00000000602C: 7E7803B2
	v_mov_b32_e32 v72, v178                                    // 000000006030: 7E9003B2
	v_mov_b32_e32 v61, v178                                    // 000000006034: 7E7A03B2
	v_mov_b32_e32 v73, v178                                    // 000000006038: 7E9203B2
	v_mov_b32_e32 v62, v178                                    // 00000000603C: 7E7C03B2
	v_mov_b32_e32 v74, v178                                    // 000000006040: 7E9403B2
	v_mov_b32_e32 v63, v178                                    // 000000006044: 7E7E03B2
	v_mov_b32_e32 v75, v178                                    // 000000006048: 7E9603B2
	s_branch label_081D                                        // 00000000604C: BF820000

0000000000006050 <label_081D>:
	s_addk_i32 s74, 0x1                                        // 000000006050: B74A0001
	s_waitcnt lgkmcnt(8)                                       // 000000006054: BF8CC87F
	s_barrier                                                  // 000000006058: BF8A0000
	v_mfma_f32_16x16x16_f16 v[76:79], v[108:109], a[72:73], 0  // 00000000605C: D3CD004C 1202916C
	ds_read_b128 a[96:99], v14 offset:4352                     // 000000006064: DBFE1100 6000000E
	ds_read_b128 a[100:103], v14 offset:4864                   // 00000000606C: DBFE1300 6400000E
	v_mfma_f32_16x16x16_f16 v[76:79], v[110:111], a[74:75], v[76:79]// 000000006074: D3CD004C 1532956E
	v_fma_f32 v52, v52, s57, -v140                             // 00000000607C: D1CB0034 86307334
	v_fma_f32 v53, v53, s57, -v141                             // 000000006084: D1CB0035 86347335
	v_fma_f32 v54, v54, s57, -v142                             // 00000000608C: D1CB0036 86387336
	v_fma_f32 v55, v55, s57, -v143                             // 000000006094: D1CB0037 863C7337
	v_fma_f32 v56, v56, s57, -v140                             // 00000000609C: D1CB0038 86307338
	v_fma_f32 v57, v57, s57, -v141                             // 0000000060A4: D1CB0039 86347339
	v_mfma_f32_16x16x16_f16 v[76:79], v[112:113], a[76:77], v[76:79]// 0000000060AC: D3CD004C 15329970
	v_fma_f32 v58, v58, s57, -v142                             // 0000000060B4: D1CB003A 8638733A
	v_fma_f32 v59, v59, s57, -v143                             // 0000000060BC: D1CB003B 863C733B
	v_fma_f32 v60, v60, s57, -v140                             // 0000000060C4: D1CB003C 8630733C
	v_fma_f32 v61, v61, s57, -v141                             // 0000000060CC: D1CB003D 8634733D
	v_fma_f32 v62, v62, s57, -v142                             // 0000000060D4: D1CB003E 8638733E
	v_fma_f32 v63, v63, s57, -v143                             // 0000000060DC: D1CB003F 863C733F
	v_mfma_f32_16x16x16_f16 v[76:79], v[114:115], a[78:79], v[76:79]// 0000000060E4: D3CD004C 15329D72
	v_fma_f32 v64, v64, s57, -v144                             // 0000000060EC: D1CB0040 86407340
	v_fma_f32 v65, v65, s57, -v145                             // 0000000060F4: D1CB0041 86447341
	v_fma_f32 v66, v66, s57, -v146                             // 0000000060FC: D1CB0042 86487342
	v_fma_f32 v67, v67, s57, -v147                             // 000000006104: D1CB0043 864C7343
	v_fma_f32 v68, v68, s57, -v144                             // 00000000610C: D1CB0044 86407344
	v_fma_f32 v69, v69, s57, -v145                             // 000000006114: D1CB0045 86447345
	v_mfma_f32_16x16x16_f16 v[80:83], v[108:109], a[80:81], 0  // 00000000611C: D3CD0050 1202A16C
	ds_read_b128 a[104:107], v14 offset:6528                   // 000000006124: DBFE1980 6800000E
	ds_read_b128 a[108:111], v14 offset:7040                   // 00000000612C: DBFE1B80 6C00000E
	v_mfma_f32_16x16x16_f16 v[80:83], v[110:111], a[82:83], v[80:83]// 000000006134: D3CD0050 1542A56E
	v_fma_f32 v70, v70, s57, -v146                             // 00000000613C: D1CB0046 86487346
	v_fma_f32 v71, v71, s57, -v147                             // 000000006144: D1CB0047 864C7347
	v_fma_f32 v72, v72, s57, -v144                             // 00000000614C: D1CB0048 86407348
	v_fma_f32 v73, v73, s57, -v145                             // 000000006154: D1CB0049 86447349
	v_fma_f32 v74, v74, s57, -v146                             // 00000000615C: D1CB004A 8648734A
	v_fma_f32 v75, v75, s57, -v147                             // 000000006164: D1CB004B 864C734B
	v_mfma_f32_16x16x16_f16 v[80:83], v[112:113], a[84:85], v[80:83]// 00000000616C: D3CD0050 1542A970
	v_exp_f32_e32 v52, v52                                     // 000000006174: 7E684134
	v_exp_f32_e32 v53, v53                                     // 000000006178: 7E6A4135
	v_mfma_f32_16x16x16_f16 v[80:83], v[114:115], a[86:87], v[80:83]// 00000000617C: D3CD0050 1542AD72
	v_exp_f32_e32 v54, v54                                     // 000000006184: 7E6C4136
	v_exp_f32_e32 v55, v55                                     // 000000006188: 7E6E4137
	v_mfma_f32_16x16x16_f16 v[84:87], v[108:109], a[88:89], 0  // 00000000618C: D3CD0054 1202B16C
	ds_read_b64 v[156:157], v21 offset:31232                   // 000000006194: D8EC7A00 9C000015
	ds_read_b64 v[158:159], v21 offset:33280                   // 00000000619C: D8EC8200 9E000015
	v_mfma_f32_16x16x16_f16 v[84:87], v[110:111], a[90:91], v[84:87]// 0000000061A4: D3CD0054 1552B56E
	v_exp_f32_e32 v56, v56                                     // 0000000061AC: 7E704138
	v_exp_f32_e32 v57, v57                                     // 0000000061B0: 7E724139
	v_mfma_f32_16x16x16_f16 v[84:87], v[112:113], a[92:93], v[84:87]// 0000000061B4: D3CD0054 1552B970
	ds_read_b64 v[160:161], v21 offset:35328                   // 0000000061BC: D8EC8A00 A0000015
	ds_read_b64 v[162:163], v21 offset:37376                   // 0000000061C4: D8EC9200 A2000015
	v_mfma_f32_16x16x16_f16 v[84:87], v[114:115], a[94:95], v[84:87]// 0000000061CC: D3CD0054 1552BD72
	v_exp_f32_e32 v58, v58                                     // 0000000061D4: 7E74413A
	v_exp_f32_e32 v59, v59                                     // 0000000061D8: 7E76413B
	v_mfma_f32_16x16x16_f16 v[88:91], v[116:117], a[72:73], 0  // 0000000061DC: D3CD0058 12029174
	v_exp_f32_e32 v60, v60                                     // 0000000061E4: 7E78413C
	v_exp_f32_e32 v61, v61                                     // 0000000061E8: 7E7A413D
	v_mfma_f32_16x16x16_f16 v[88:91], v[118:119], a[74:75], v[88:91]// 0000000061EC: D3CD0058 15629576
	v_exp_f32_e32 v62, v62                                     // 0000000061F4: 7E7C413E
	v_exp_f32_e32 v63, v63                                     // 0000000061F8: 7E7E413F
	v_mfma_f32_16x16x16_f16 v[88:91], v[120:121], a[76:77], v[88:91]// 0000000061FC: D3CD0058 15629978
	v_exp_f32_e32 v64, v64                                     // 000000006204: 7E804140
	v_exp_f32_e32 v65, v65                                     // 000000006208: 7E824141
	v_mfma_f32_16x16x16_f16 v[88:91], v[122:123], a[78:79], v[88:91]// 00000000620C: D3CD0058 15629D7A
	v_exp_f32_e32 v66, v66                                     // 000000006214: 7E844142
	v_exp_f32_e32 v67, v67                                     // 000000006218: 7E864143
	v_mfma_f32_16x16x16_f16 v[92:95], v[116:117], a[80:81], 0  // 00000000621C: D3CD005C 1202A174
	v_exp_f32_e32 v68, v68                                     // 000000006224: 7E884144
	v_exp_f32_e32 v69, v69                                     // 000000006228: 7E8A4145
	v_mfma_f32_16x16x16_f16 v[92:95], v[118:119], a[82:83], v[92:95]// 00000000622C: D3CD005C 1572A576
	v_exp_f32_e32 v70, v70                                     // 000000006234: 7E8C4146
	v_exp_f32_e32 v71, v71                                     // 000000006238: 7E8E4147
	v_mfma_f32_16x16x16_f16 v[92:95], v[120:121], a[84:85], v[92:95]// 00000000623C: D3CD005C 1572A978
	v_exp_f32_e32 v72, v72                                     // 000000006244: 7E904148
	v_exp_f32_e32 v73, v73                                     // 000000006248: 7E924149
	v_mfma_f32_16x16x16_f16 v[92:95], v[122:123], a[86:87], v[92:95]// 00000000624C: D3CD005C 1572AD7A
	v_exp_f32_e32 v74, v74                                     // 000000006254: 7E94414A
	v_exp_f32_e32 v75, v75                                     // 000000006258: 7E96414B
	v_mfma_f32_16x16x16_f16 v[96:99], v[116:117], a[88:89], 0  // 00000000625C: D3CD0060 1202B174
	v_cvt_pkrtz_f16_f32 v164, v52, v53                         // 000000006264: D29600A4 00026B34
	v_cvt_pkrtz_f16_f32 v165, v54, v55                         // 00000000626C: D29600A5 00026F36
	v_cvt_pkrtz_f16_f32 v166, v56, v57                         // 000000006274: D29600A6 00027338
	v_cvt_pkrtz_f16_f32 v167, v58, v59                         // 00000000627C: D29600A7 0002773A
	v_cvt_pkrtz_f16_f32 v168, v60, v61                         // 000000006284: D29600A8 00027B3C
	v_cvt_pkrtz_f16_f32 v169, v62, v63                         // 00000000628C: D29600A9 00027F3E
	v_mfma_f32_16x16x16_f16 v[96:99], v[118:119], a[90:91], v[96:99]// 000000006294: D3CD0060 1582B576
	v_cvt_pkrtz_f16_f32 v170, v64, v65                         // 00000000629C: D29600AA 00028340
	v_cvt_pkrtz_f16_f32 v171, v66, v67                         // 0000000062A4: D29600AB 00028742
	v_cvt_pkrtz_f16_f32 v172, v68, v69                         // 0000000062AC: D29600AC 00028B44
	v_cvt_pkrtz_f16_f32 v173, v70, v71                         // 0000000062B4: D29600AD 00028F46
	v_cvt_pkrtz_f16_f32 v174, v72, v73                         // 0000000062BC: D29600AE 00029348
	v_cvt_pkrtz_f16_f32 v175, v74, v75                         // 0000000062C4: D29600AF 0002974A
	v_mfma_f32_16x16x16_f16 v[96:99], v[120:121], a[92:93], v[96:99]// 0000000062CC: D3CD0060 1582B978
	v_add_u32_e32 v6, s66, v6                                  // 0000000062D4: 680C0C42
	v_add_u32_e32 v7, s66, v7                                  // 0000000062D8: 680E0E42
	v_add_u32_e32 v8, s66, v8                                  // 0000000062DC: 68101042
	v_add_u32_e32 v9, s66, v9                                  // 0000000062E0: 68121242
	v_mfma_f32_16x16x16_f16 v[96:99], v[122:123], a[94:95], v[96:99]// 0000000062E4: D3CD0060 1582BD7A
	s_waitcnt lgkmcnt(0)                                       // 0000000062EC: BF8CC07F
	s_barrier                                                  // 0000000062F0: BF8A0000
	v_mfma_f32_16x16x16_f16 v[180:183], v[124:125], v[164:165], v[180:183]// 0000000062F4: D3CD00B4 06D3497C
	v_subrev_f32_dpp v76, v176, v76 quad_perm:[0,0,0,0] row_mask:0xf bank_mask:0xf// 0000000062FC: 069898FA FF0000B0
	v_subrev_f32_dpp v77, v176, v77 quad_perm:[1,1,1,1] row_mask:0xf bank_mask:0xf// 000000006304: 069A9AFA FF0055B0
	v_subrev_f32_dpp v78, v176, v78 quad_perm:[2,2,2,2] row_mask:0xf bank_mask:0xf// 00000000630C: 069C9CFA FF00AAB0
	v_subrev_f32_dpp v79, v176, v79 quad_perm:[3,3,3,3] row_mask:0xf bank_mask:0xf// 000000006314: 069E9EFA FF00FFB0
	v_subrev_f32_dpp v80, v176, v80 quad_perm:[0,0,0,0] row_mask:0xf bank_mask:0xf// 00000000631C: 06A0A0FA FF0000B0
	v_subrev_f32_dpp v81, v176, v81 quad_perm:[1,1,1,1] row_mask:0xf bank_mask:0xf// 000000006324: 06A2A2FA FF0055B0
	v_mfma_f32_16x16x16_f16 v[184:187], v[126:127], v[164:165], v[184:187]// 00000000632C: D3CD00B8 06E3497E
	v_subrev_f32_dpp v82, v176, v82 quad_perm:[2,2,2,2] row_mask:0xf bank_mask:0xf// 000000006334: 06A4A4FA FF00AAB0
	v_subrev_f32_dpp v83, v176, v83 quad_perm:[3,3,3,3] row_mask:0xf bank_mask:0xf// 00000000633C: 06A6A6FA FF00FFB0
	v_subrev_f32_dpp v84, v176, v84 quad_perm:[0,0,0,0] row_mask:0xf bank_mask:0xf// 000000006344: 06A8A8FA FF0000B0
	v_subrev_f32_dpp v85, v176, v85 quad_perm:[1,1,1,1] row_mask:0xf bank_mask:0xf// 00000000634C: 06AAAAFA FF0055B0
	v_subrev_f32_dpp v86, v176, v86 quad_perm:[2,2,2,2] row_mask:0xf bank_mask:0xf// 000000006354: 06ACACFA FF00AAB0
	v_subrev_f32_dpp v87, v176, v87 quad_perm:[3,3,3,3] row_mask:0xf bank_mask:0xf// 00000000635C: 06AEAEFA FF00FFB0
	v_mfma_f32_16x16x16_f16 v[188:191], v[128:129], v[164:165], v[188:191]// 000000006364: D3CD00BC 06F34980
	v_mul_f32_e32 v76, v52, v76                                // 00000000636C: 0A989934
	v_mul_f32_e32 v77, v53, v77                                // 000000006370: 0A9A9B35
	v_mul_f32_e32 v78, v54, v78                                // 000000006374: 0A9C9D36
	v_mul_f32_e32 v79, v55, v79                                // 000000006378: 0A9E9F37
	v_mul_f32_e32 v80, v56, v80                                // 00000000637C: 0AA0A138
	v_mul_f32_e32 v81, v57, v81                                // 000000006380: 0AA2A339
	v_mfma_f32_16x16x16_f16 v[192:195], v[130:131], v[164:165], v[192:195]// 000000006384: D3CD00C0 07034982
	v_mul_f32_e32 v82, v58, v82                                // 00000000638C: 0AA4A53A
	v_mul_f32_e32 v83, v59, v83                                // 000000006390: 0AA6A73B
	v_mul_f32_e32 v84, v60, v84                                // 000000006394: 0AA8A93C
	v_mul_f32_e32 v85, v61, v85                                // 000000006398: 0AAAAB3D
	v_mul_f32_e32 v86, v62, v86                                // 00000000639C: 0AACAD3E
	v_mul_f32_e32 v87, v63, v87                                // 0000000063A0: 0AAEAF3F
	v_mfma_f32_16x16x16_f16 v[196:199], v[124:125], v[166:167], v[196:199]// 0000000063A4: D3CD00C4 07134D7C
	v_cvt_pkrtz_f16_f32 v76, v76, v77                          // 0000000063AC: D296004C 00029B4C
	v_cvt_pkrtz_f16_f32 v77, v78, v79                          // 0000000063B4: D296004D 00029F4E
	v_cvt_pkrtz_f16_f32 v78, v80, v81                          // 0000000063BC: D296004E 0002A350
	v_cvt_pkrtz_f16_f32 v79, v82, v83                          // 0000000063C4: D296004F 0002A752
	v_cvt_pkrtz_f16_f32 v80, v84, v85                          // 0000000063CC: D2960050 0002AB54
	v_cvt_pkrtz_f16_f32 v81, v86, v87                          // 0000000063D4: D2960051 0002AF56
	v_mfma_f32_16x16x16_f16 v[200:203], v[126:127], v[166:167], v[200:203]// 0000000063DC: D3CD00C8 07234D7E
	v_mov_b32_dpp v18, v76 quad_perm:[1,0,3,2] row_mask:0xf bank_mask:0xf// 0000000063E4: 7E2402FA FF00B14C
	v_perm_b32 v52, v18, v76, v17                              // 0000000063EC: D1ED0034 04469912
	v_mov_b32_dpp v18, v77 quad_perm:[1,0,3,2] row_mask:0xf bank_mask:0xf// 0000000063F4: 7E2402FA FF00B14D
	v_perm_b32 v53, v18, v77, v17                              // 0000000063FC: D1ED0035 04469B12
	v_mov_b32_dpp v18, v78 quad_perm:[1,0,3,2] row_mask:0xf bank_mask:0xf// 000000006404: 7E2402FA FF00B14E
	v_perm_b32 v54, v18, v78, v17                              // 00000000640C: D1ED0036 04469D12
	v_mfma_f32_16x16x16_f16 v[204:207], v[128:129], v[166:167], v[204:207]// 000000006414: D3CD00CC 07334D80
	v_mov_b32_dpp v18, v79 quad_perm:[1,0,3,2] row_mask:0xf bank_mask:0xf// 00000000641C: 7E2402FA FF00B14F
	v_perm_b32 v55, v18, v79, v17                              // 000000006424: D1ED0037 04469F12
	v_mov_b32_dpp v18, v80 quad_perm:[1,0,3,2] row_mask:0xf bank_mask:0xf// 00000000642C: 7E2402FA FF00B150
	v_perm_b32 v56, v18, v80, v17                              // 000000006434: D1ED0038 0446A112
	v_mov_b32_dpp v18, v81 quad_perm:[1,0,3,2] row_mask:0xf bank_mask:0xf// 00000000643C: 7E2402FA FF00B151
	v_perm_b32 v57, v18, v81, v17                              // 000000006444: D1ED0039 0446A312
	v_mfma_f32_16x16x16_f16 v[208:211], v[130:131], v[166:167], v[208:211]// 00000000644C: D3CD00D0 07434D82
	ds_write_b32 v20, v52 offset:17408                         // 000000006454: D81A4400 00003414
	ds_write_b32 v20, v53 offset:17952                         // 00000000645C: D81A4620 00003514
	v_mfma_f32_16x16x16_f16 v[212:215], v[124:125], v[168:169], v[212:215]// 000000006464: D3CD00D4 0753517C
	v_subrev_f32_dpp v88, v177, v88 quad_perm:[0,0,0,0] row_mask:0xf bank_mask:0xf// 00000000646C: 06B0B0FA FF0000B1
	v_subrev_f32_dpp v89, v177, v89 quad_perm:[1,1,1,1] row_mask:0xf bank_mask:0xf// 000000006474: 06B2B2FA FF0055B1
	v_subrev_f32_dpp v90, v177, v90 quad_perm:[2,2,2,2] row_mask:0xf bank_mask:0xf// 00000000647C: 06B4B4FA FF00AAB1
	v_subrev_f32_dpp v91, v177, v91 quad_perm:[3,3,3,3] row_mask:0xf bank_mask:0xf// 000000006484: 06B6B6FA FF00FFB1
	v_subrev_f32_dpp v92, v177, v92 quad_perm:[0,0,0,0] row_mask:0xf bank_mask:0xf// 00000000648C: 06B8B8FA FF0000B1
	v_subrev_f32_dpp v93, v177, v93 quad_perm:[1,1,1,1] row_mask:0xf bank_mask:0xf// 000000006494: 06BABAFA FF0055B1
	v_mfma_f32_16x16x16_f16 v[216:219], v[126:127], v[168:169], v[216:219]// 00000000649C: D3CD00D8 0763517E
	ds_write_b32 v20, v54 offset:19712                         // 0000000064A4: D81A4D00 00003614
	ds_write_b32 v20, v55 offset:20256                         // 0000000064AC: D81A4F20 00003714
	v_mfma_f32_16x16x16_f16 v[220:223], v[128:129], v[168:169], v[220:223]// 0000000064B4: D3CD00DC 07735180
	v_subrev_f32_dpp v94, v177, v94 quad_perm:[2,2,2,2] row_mask:0xf bank_mask:0xf// 0000000064BC: 06BCBCFA FF00AAB1
	v_subrev_f32_dpp v95, v177, v95 quad_perm:[3,3,3,3] row_mask:0xf bank_mask:0xf// 0000000064C4: 06BEBEFA FF00FFB1
	v_subrev_f32_dpp v96, v177, v96 quad_perm:[0,0,0,0] row_mask:0xf bank_mask:0xf// 0000000064CC: 06C0C0FA FF0000B1
	v_subrev_f32_dpp v97, v177, v97 quad_perm:[1,1,1,1] row_mask:0xf bank_mask:0xf// 0000000064D4: 06C2C2FA FF0055B1
	v_subrev_f32_dpp v98, v177, v98 quad_perm:[2,2,2,2] row_mask:0xf bank_mask:0xf// 0000000064DC: 06C4C4FA FF00AAB1
	v_subrev_f32_dpp v99, v177, v99 quad_perm:[3,3,3,3] row_mask:0xf bank_mask:0xf// 0000000064E4: 06C6C6FA FF00FFB1
	v_mfma_f32_16x16x16_f16 v[224:227], v[130:131], v[168:169], v[224:227]// 0000000064EC: D3CD00E0 07835182
	ds_write_b32 v20, v56 offset:22016                         // 0000000064F4: D81A5600 00003814
	ds_write_b32 v20, v57 offset:22560                         // 0000000064FC: D81A5820 00003914
	v_mfma_f32_16x16x16_f16 v[180:183], v[132:133], v[170:171], v[180:183]// 000000006504: D3CD00B4 06D35584
	v_mul_f32_e32 v88, v64, v88                                // 00000000650C: 0AB0B140
	v_mul_f32_e32 v89, v65, v89                                // 000000006510: 0AB2B341
	v_mul_f32_e32 v90, v66, v90                                // 000000006514: 0AB4B542
	v_mul_f32_e32 v91, v67, v91                                // 000000006518: 0AB6B743
	v_mul_f32_e32 v92, v68, v92                                // 00000000651C: 0AB8B944
	v_mul_f32_e32 v93, v69, v93                                // 000000006520: 0ABABB45
	v_mfma_f32_16x16x16_f16 v[184:187], v[134:135], v[170:171], v[184:187]// 000000006524: D3CD00B8 06E35586
	v_mul_f32_e32 v94, v70, v94                                // 00000000652C: 0ABCBD46
	v_mul_f32_e32 v95, v71, v95                                // 000000006530: 0ABEBF47
	v_mul_f32_e32 v96, v72, v96                                // 000000006534: 0AC0C148
	v_mul_f32_e32 v97, v73, v97                                // 000000006538: 0AC2C349
	v_mul_f32_e32 v98, v74, v98                                // 00000000653C: 0AC4C54A
	v_mul_f32_e32 v99, v75, v99                                // 000000006540: 0AC6C74B
	v_mfma_f32_16x16x16_f16 v[188:191], v[136:137], v[170:171], v[188:191]// 000000006544: D3CD00BC 06F35588
	v_cvt_pkrtz_f16_f32 v82, v88, v89                          // 00000000654C: D2960052 0002B358
	v_cvt_pkrtz_f16_f32 v83, v90, v91                          // 000000006554: D2960053 0002B75A
	v_cvt_pkrtz_f16_f32 v84, v92, v93                          // 00000000655C: D2960054 0002BB5C
	v_cvt_pkrtz_f16_f32 v85, v94, v95                          // 000000006564: D2960055 0002BF5E
	v_cvt_pkrtz_f16_f32 v86, v96, v97                          // 00000000656C: D2960056 0002C360
	v_cvt_pkrtz_f16_f32 v87, v98, v99                          // 000000006574: D2960057 0002C762
	v_mfma_f32_16x16x16_f16 v[192:195], v[138:139], v[170:171], v[192:195]// 00000000657C: D3CD00C0 0703558A
	v_mov_b32_dpp v18, v82 quad_perm:[1,0,3,2] row_mask:0xf bank_mask:0xf// 000000006584: 7E2402FA FF00B152
	v_perm_b32 v58, v18, v82, v17                              // 00000000658C: D1ED003A 0446A512
	v_mov_b32_dpp v18, v83 quad_perm:[1,0,3,2] row_mask:0xf bank_mask:0xf// 000000006594: 7E2402FA FF00B153
	v_perm_b32 v59, v18, v83, v17                              // 00000000659C: D1ED003B 0446A712
	v_mov_b32_dpp v18, v84 quad_perm:[1,0,3,2] row_mask:0xf bank_mask:0xf// 0000000065A4: 7E2402FA FF00B154
	v_perm_b32 v60, v18, v84, v17                              // 0000000065AC: D1ED003C 0446A912
	v_mfma_f32_16x16x16_f16 v[196:199], v[132:133], v[172:173], v[196:199]// 0000000065B4: D3CD00C4 07135984
	v_mov_b32_dpp v18, v85 quad_perm:[1,0,3,2] row_mask:0xf bank_mask:0xf// 0000000065BC: 7E2402FA FF00B155
	v_perm_b32 v61, v18, v85, v17                              // 0000000065C4: D1ED003D 0446AB12
	v_mov_b32_dpp v18, v86 quad_perm:[1,0,3,2] row_mask:0xf bank_mask:0xf// 0000000065CC: 7E2402FA FF00B156
	v_perm_b32 v62, v18, v86, v17                              // 0000000065D4: D1ED003E 0446AD12
	v_mov_b32_dpp v18, v87 quad_perm:[1,0,3,2] row_mask:0xf bank_mask:0xf// 0000000065DC: 7E2402FA FF00B157
	v_perm_b32 v63, v18, v87, v17                              // 0000000065E4: D1ED003F 0446AF12
	v_mfma_f32_16x16x16_f16 v[200:203], v[134:135], v[172:173], v[200:203]// 0000000065EC: D3CD00C8 07235986
	ds_write_b32 v20, v58 offset:24320                         // 0000000065F4: D81A5F00 00003A14
	ds_write_b32 v20, v59 offset:24864                         // 0000000065FC: D81A6120 00003B14
	v_mfma_f32_16x16x16_f16 v[204:207], v[136:137], v[172:173], v[204:207]// 000000006604: D3CD00CC 07335988
	v_mfma_f32_16x16x16_f16 v[208:211], v[138:139], v[172:173], v[208:211]// 00000000660C: D3CD00D0 0743598A
	ds_write_b32 v20, v60 offset:26624                         // 000000006614: D81A6800 00003C14
	ds_write_b32 v20, v61 offset:27168                         // 00000000661C: D81A6A20 00003D14
	ds_write_b32 v20, v62 offset:28928                         // 000000006624: D81A7100 00003E14
	ds_write_b32 v20, v63 offset:29472                         // 00000000662C: D81A7320 00003F14
	v_mfma_f32_16x16x16_f16 v[212:215], v[132:133], v[174:175], v[212:215]// 000000006634: D3CD00D4 07535D84
	v_mfma_f32_16x16x16_f16 v[216:219], v[134:135], v[174:175], v[216:219]// 00000000663C: D3CD00D8 07635D86
	ds_write_b32 v15, v100 offset:4352                         // 000000006644: D81A1100 0000640F
	ds_write_b32 v15, v101 offset:5408                         // 00000000664C: D81A1520 0000650F
	v_mfma_f32_16x16x16_f16 v[220:223], v[136:137], v[174:175], v[220:223]// 000000006654: D3CD00DC 07735D88
	s_nop 0                                                    // 00000000665C: BF800000
	s_nop 0                                                    // 000000006660: BF800000
	s_nop 0                                                    // 000000006664: BF800000
	v_mfma_f32_16x16x16_f16 v[224:227], v[138:139], v[174:175], v[224:227]// 000000006668: D3CD00E0 07835D8A
	ds_write_b32 v15, v102 offset:6528                         // 000000006670: D81A1980 0000660F
	ds_write_b32 v15, v103 offset:7584                         // 000000006678: D81A1DA0 0000670F
	s_barrier                                                  // 000000006680: BF8A0000
	v_mfma_f32_16x16x16_f16 a[112:115], a[96:97], v[76:77], a[112:115]// 000000006684: D3CD8070 0DC29960
	buffer_atomic_add_f32 v156, v6, s[32:35], 0 idxen          // 00000000668C: E1342000 80089C06
	v_mfma_f32_16x16x16_f16 a[116:119], a[98:99], v[76:77], a[116:119]// 000000006694: D3CD8074 0DD29962
	ds_read_b32 v140, v23 offset:39936                         // 00000000669C: D86C9C00 8C000017
	ds_read_b32 v144, v23 offset:40000                         // 0000000066A4: D86C9C40 90000017
	ds_read_b32 v176, v23 offset:40192                         // 0000000066AC: D86C9D00 B0000017
	ds_read_b32 v177, v23 offset:40256                         // 0000000066B4: D86C9D40 B1000017
	v_mfma_f32_16x16x16_f16 a[120:123], a[100:101], v[76:77], a[120:123]// 0000000066BC: D3CD8078 0DE29964
	s_waitcnt lgkmcnt(8)                                       // 0000000066C4: BF8CC87F
	s_barrier                                                  // 0000000066C8: BF8A0000
	v_mfma_f32_16x16x16_f16 a[124:127], a[102:103], v[76:77], a[124:127]// 0000000066CC: D3CD807C 0DF29966
	ds_read_b128 v[52:55], v19 offset:17408                    // 0000000066D4: D9FE4400 34000013
	v_mfma_f32_16x16x16_f16 a[128:131], a[96:97], v[78:79], a[128:131]// 0000000066DC: D3CD8080 0E029D60
	v_mfma_f32_16x16x16_f16 a[132:135], a[98:99], v[78:79], a[132:135]// 0000000066E4: D3CD8084 0E129D62
	ds_read_b128 v[56:59], v19 offset:18560                    // 0000000066EC: D9FE4880 38000013
	v_mfma_f32_16x16x16_f16 a[136:139], a[100:101], v[78:79], a[136:139]// 0000000066F4: D3CD8088 0E229D64
	buffer_atomic_add_f32 v157, v7, s[32:35], 0 idxen          // 0000000066FC: E1342000 80089D07
	v_mfma_f32_16x16x16_f16 a[140:143], a[102:103], v[78:79], a[140:143]// 000000006704: D3CD808C 0E329D66
	ds_read_b128 v[60:63], v19 offset:19712                    // 00000000670C: D9FE4D00 3C000013
	v_mfma_f32_16x16x16_f16 a[144:147], a[96:97], v[80:81], a[144:147]// 000000006714: D3CD8090 0E42A160
	v_mfma_f32_16x16x16_f16 a[148:151], a[98:99], v[80:81], a[148:151]// 00000000671C: D3CD8094 0E52A162
	ds_read_b128 v[64:67], v19 offset:20864                    // 000000006724: D9FE5180 40000013
	v_mfma_f32_16x16x16_f16 a[152:155], a[100:101], v[80:81], a[152:155]// 00000000672C: D3CD8098 0E62A164
	v_mfma_f32_16x16x16_f16 a[156:159], a[102:103], v[80:81], a[156:159]// 000000006734: D3CD809C 0E72A166
	ds_read_b128 v[68:71], v19 offset:22016                    // 00000000673C: D9FE5600 44000013
	v_mfma_f32_16x16x16_f16 a[112:115], a[104:105], v[82:83], a[112:115]// 000000006744: D3CD8070 0DC2A568
	buffer_atomic_add_f32 v158, v6, s[32:35], 0 idxen offset:128// 00000000674C: E1342080 80089E06
	v_mfma_f32_16x16x16_f16 a[116:119], a[106:107], v[82:83], a[116:119]// 000000006754: D3CD8074 0DD2A56A
	ds_read_b128 v[72:75], v19 offset:23168                    // 00000000675C: D9FE5A80 48000013
	v_mfma_f32_16x16x16_f16 a[120:123], a[108:109], v[82:83], a[120:123]// 000000006764: D3CD8078 0DE2A56C
	v_mfma_f32_16x16x16_f16 a[124:127], a[110:111], v[82:83], a[124:127]// 00000000676C: D3CD807C 0DF2A56E
	ds_write_b32 v15, v104 offset:13056                        // 000000006774: D81A3300 0000680F
	v_mfma_f32_16x16x16_f16 a[128:131], a[104:105], v[84:85], a[128:131]// 00000000677C: D3CD8080 0E02A968
	v_mfma_f32_16x16x16_f16 a[132:135], a[106:107], v[84:85], a[132:135]// 000000006784: D3CD8084 0E12A96A
	ds_write_b32 v15, v105 offset:14112                        // 00000000678C: D81A3720 0000690F
	v_mfma_f32_16x16x16_f16 a[136:139], a[108:109], v[84:85], a[136:139]// 000000006794: D3CD8088 0E22A96C
	buffer_atomic_add_f32 v159, v7, s[32:35], 0 idxen offset:128// 00000000679C: E1342080 80089F07
	v_mfma_f32_16x16x16_f16 a[140:143], a[110:111], v[84:85], a[140:143]// 0000000067A4: D3CD808C 0E32A96E
	ds_write_b32 v15, v106 offset:15232                        // 0000000067AC: D81A3B80 00006A0F
	v_mfma_f32_16x16x16_f16 a[144:147], a[104:105], v[86:87], a[144:147]// 0000000067B4: D3CD8090 0E42AD68
	v_mfma_f32_16x16x16_f16 a[148:151], a[106:107], v[86:87], a[148:151]// 0000000067BC: D3CD8094 0E52AD6A
	ds_write_b32 v15, v107 offset:16288                        // 0000000067C4: D81A3FA0 00006B0F
	v_mfma_f32_16x16x16_f16 a[152:155], a[108:109], v[86:87], a[152:155]// 0000000067CC: D3CD8098 0E62AD6C
	v_mfma_f32_16x16x16_f16 a[156:159], a[110:111], v[86:87], a[156:159]// 0000000067D4: D3CD809C 0E72AD6E
	s_waitcnt vmcnt(8) lgkmcnt(4)                              // 0000000067DC: BF8C0478
	s_barrier                                                  // 0000000067E0: BF8A0000
	v_mfma_f32_16x16x16_f16 v[148:151], v[52:53], a[24:25], 0  // 0000000067E4: D3CD0094 12023134
	v_mul_f32_e32 v140, s48, v140                              // 0000000067EC: 0B191830
	v_mul_f32_e32 v144, s48, v144                              // 0000000067F0: 0B212030
	s_nop 0                                                    // 0000000067F4: BF800000
	v_mfma_f32_16x16x16_f16 v[148:151], v[54:55], a[28:29], v[148:151]// 0000000067F8: D3CD0094 16523936
	ds_read_b128 a[96:99], v12                                 // 000000006800: DBFE0000 6000000C
	buffer_load_dword v40, v1, s[8:11], 0 idxen                // 000000006808: E0502000 80022801
	v_mfma_f32_16x16x16_f16 v[148:151], v[56:57], a[32:33], v[148:151]// 000000006810: D3CD0094 16524138
	v_mfma_f32_16x16x16_f16 v[148:151], v[58:59], a[36:37], v[148:151]// 000000006818: D3CD0094 1652493A
	ds_read_b128 a[100:103], v12 offset:512                    // 000000006820: DBFE0200 6400000C
	buffer_load_dword v41, v2, s[8:11], 0 idxen                // 000000006828: E0502000 80022902
	v_mfma_f32_16x16x16_f16 v[148:151], v[60:61], a[40:41], v[148:151]// 000000006830: D3CD0094 1652513C
	v_perm_b32 v100, v37, v36, s63                             // 000000006838: D1ED0064 00FE4925
	v_perm_b32 v101, v37, v36, s64                             // 000000006840: D1ED0065 01024925
	v_mfma_f32_16x16x16_f16 v[148:151], v[62:63], a[44:45], v[148:151]// 000000006848: D3CD0094 1652593E
	ds_read_b128 a[104:107], v12 offset:2176                   // 000000006850: DBFE0880 6800000C
	buffer_load_dword v42, v3, s[8:11], 0 idxen                // 000000006858: E0502000 80022A03
	v_mfma_f32_16x16x16_f16 v[148:151], v[64:65], a[48:49], v[148:151]// 000000006860: D3CD0094 16526140
	v_perm_b32 v102, v39, v38, s63                             // 000000006868: D1ED0066 00FE4D27
	v_perm_b32 v103, v39, v38, s64                             // 000000006870: D1ED0067 01024D27
	v_mfma_f32_16x16x16_f16 v[148:151], v[66:67], a[52:53], v[148:151]// 000000006878: D3CD0094 16526942
	ds_read_b128 a[108:111], v12 offset:2688                   // 000000006880: DBFE0A80 6C00000C
	buffer_load_dword v43, v4, s[8:11], 0 idxen                // 000000006888: E0502000 80022B04
	v_mfma_f32_16x16x16_f16 v[148:151], v[68:69], a[56:57], v[148:151]// 000000006890: D3CD0094 16527144
	v_perm_b32 v104, v45, v44, s63                             // 000000006898: D1ED0068 00FE592D
	v_perm_b32 v105, v45, v44, s64                             // 0000000068A0: D1ED0069 0102592D
	v_mfma_f32_16x16x16_f16 v[148:151], v[70:71], a[60:61], v[148:151]// 0000000068A8: D3CD0094 16527946
	ds_read_b128 v[108:111], v12 offset:8704                   // 0000000068B0: D9FE2200 6C00000C
	buffer_load_dword v48, v228, s[20:23], 0 idxen             // 0000000068B8: E0502000 800530E4
	v_mfma_f32_16x16x16_f16 v[148:151], v[72:73], a[64:65], v[148:151]// 0000000068C0: D3CD0094 16528148
	v_perm_b32 v106, v47, v46, s63                             // 0000000068C8: D1ED006A 00FE5D2F
	v_perm_b32 v107, v47, v46, s64                             // 0000000068D0: D1ED006B 01025D2F
	v_mfma_f32_16x16x16_f16 v[148:151], v[74:75], a[68:69], v[148:151]// 0000000068D8: D3CD0094 1652894A
	ds_read_b128 v[112:115], v12 offset:9216                   // 0000000068E0: D9FE2400 7000000C
	buffer_load_dword v49, v229, s[20:23], 0 idxen             // 0000000068E8: E0502000 800531E5
	v_mfma_f32_16x16x16_f16 v[152:155], v[52:53], a[26:27], 0  // 0000000068F0: D3CD0098 12023534
	v_mov_b32_dpp v143, v140 quad_perm:[3,3,3,3] row_mask:0xf bank_mask:0xf// 0000000068F8: 7F1E02FA FF00FF8C
	v_mov_b32_dpp v142, v140 quad_perm:[2,2,2,2] row_mask:0xf bank_mask:0xf// 000000006900: 7F1C02FA FF00AA8C
	v_mov_b32_dpp v141, v140 quad_perm:[1,1,1,1] row_mask:0xf bank_mask:0xf// 000000006908: 7F1A02FA FF00558C
	v_mov_b32_dpp v140, v140 quad_perm:[0,0,0,0] row_mask:0xf bank_mask:0xf// 000000006910: 7F1802FA FF00008C
	v_mfma_f32_16x16x16_f16 v[152:155], v[54:55], a[30:31], v[152:155]// 000000006918: D3CD0098 16623D36
	ds_read_b128 v[116:119], v12 offset:10880                  // 000000006920: D9FE2A80 7400000C
	buffer_load_dword v50, v230, s[20:23], 0 idxen             // 000000006928: E0502000 800532E6
	v_mfma_f32_16x16x16_f16 v[152:155], v[56:57], a[34:35], v[152:155]// 000000006930: D3CD0098 16624538
	v_mov_b32_dpp v147, v144 quad_perm:[3,3,3,3] row_mask:0xf bank_mask:0xf// 000000006938: 7F2602FA FF00FF90
	v_mov_b32_dpp v146, v144 quad_perm:[2,2,2,2] row_mask:0xf bank_mask:0xf// 000000006940: 7F2402FA FF00AA90
	v_mov_b32_dpp v145, v144 quad_perm:[1,1,1,1] row_mask:0xf bank_mask:0xf// 000000006948: 7F2202FA FF005590
	v_mov_b32_dpp v144, v144 quad_perm:[0,0,0,0] row_mask:0xf bank_mask:0xf// 000000006950: 7F2002FA FF000090
	s_add_u32 s60, 0x80, s59                                   // 000000006958: 803C3BFF 00000080
	v_mfma_f32_16x16x16_f16 v[152:155], v[58:59], a[38:39], v[152:155]// 000000006960: D3CD0098 16624D3A
	ds_read_b128 v[120:123], v12 offset:11392                  // 000000006968: D9FE2C80 7800000C
	buffer_load_dword v51, v231, s[20:23], 0 idxen             // 000000006970: E0502000 800533E7
	v_mfma_f32_16x16x16_f16 v[152:155], v[60:61], a[42:43], v[152:155]// 000000006978: D3CD0098 1662553C
	s_cmp_lt_u32 s60, s58                                      // 000000006980: BF0A3A3C
	s_cselect_b32 s68, s68, 0                                  // 000000006984: 85448044
	s_cselect_b32 s100, s100, 0                                // 000000006988: 85648064
	s_cselect_b32 s69, s69, 0                                  // 00000000698C: 85458045
	v_mfma_f32_16x16x16_f16 v[152:155], v[62:63], a[46:47], v[152:155]// 000000006990: D3CD0098 16625D3E
	buffer_load_dword v11, s[24:27], 0 idxen lds               // 000000006998: E0512000 8006000B
	v_mfma_f32_16x16x16_f16 v[152:155], v[64:65], a[50:51], v[152:155]// 0000000069A0: D3CD0098 16626540
	v_add_u32_e32 v1, s68, v1                                  // 0000000069A8: 68020244
	v_add_u32_e32 v2, s68, v2                                  // 0000000069AC: 68040444
	v_add_u32_e32 v3, s68, v3                                  // 0000000069B0: 68060644
	v_add_u32_e32 v4, s68, v4                                  // 0000000069B4: 68080844
	v_mfma_f32_16x16x16_f16 v[152:155], v[66:67], a[54:55], v[152:155]// 0000000069B8: D3CD0098 16626D42
	v_add_u32_e32 v228, s100, v228                             // 0000000069C0: 69C9C864
	v_add_u32_e32 v229, s100, v229                             // 0000000069C4: 69CBCA64
	v_add_u32_e32 v230, s100, v230                             // 0000000069C8: 69CDCC64
	v_add_u32_e32 v231, s100, v231                             // 0000000069CC: 69CFCE64
	v_mfma_f32_16x16x16_f16 v[152:155], v[68:69], a[58:59], v[152:155]// 0000000069D0: D3CD0098 16627544
	s_mov_b32 m0, s78                                          // 0000000069D8: BEFC004E
	v_add_u32_e32 v11, s69, v11                                // 0000000069DC: 68161645
	v_mfma_f32_16x16x16_f16 v[152:155], v[70:71], a[62:63], v[152:155]// 0000000069E0: D3CD0098 16627D46
	s_cmp_ge_u32 s59, s73                                      // 0000000069E8: BF09493B
	s_cselect_b32 s66, s67, s66                                // 0000000069EC: 85424243
	v_mfma_f32_16x16x16_f16 v[152:155], v[72:73], a[66:67], v[152:155]// 0000000069F0: D3CD0098 16628548
	s_addk_i32 s59, 0x20                                       // 0000000069F8: B73B0020
	s_nop 0                                                    // 0000000069FC: BF800000
	s_cmp_lt_i32 s59, s58                                      // 000000006A00: BF043A3B
	v_mfma_f32_16x16x16_f16 v[152:155], v[74:75], a[70:71], v[152:155]// 000000006A04: D3CD0098 16628D4A
	s_cbranch_scc0 label_0EC1                                  // 000000006A0C: BF84042B
	s_waitcnt lgkmcnt(4)                                       // 000000006A10: BF8CC47F
	s_barrier                                                  // 000000006A14: BF8A0000
	v_mfma_f32_16x16x16_f16 v[52:55], a[96:97], a[0:1], 0      // 000000006A18: D3CD0034 1A020160
	ds_write_b32 v13, v44 offset:8704                          // 000000006A20: D81A2200 00002C0D
	ds_write_b32 v13, v45 offset:9760                          // 000000006A28: D81A2620 00002D0D
	v_mfma_f32_16x16x16_f16 v[52:55], a[98:99], a[2:3], v[52:55]// 000000006A30: D3CD0034 1CD20562
	v_mul_f32_e32 v148, s47, v148                              // 000000006A38: 0B29282F
	v_mul_f32_e32 v149, s47, v149                              // 000000006A3C: 0B2B2A2F
	v_mfma_f32_16x16x16_f16 v[52:55], a[100:101], a[4:5], v[52:55]// 000000006A40: D3CD0034 1CD20964
	ds_write_b32 v13, v46 offset:10880                         // 000000006A48: D81A2A80 00002E0D
	ds_write_b32 v13, v47 offset:11936                         // 000000006A50: D81A2EA0 00002F0D
	v_mfma_f32_16x16x16_f16 v[52:55], a[102:103], a[6:7], v[52:55]// 000000006A58: D3CD0034 1CD20D66
	v_mul_f32_e32 v150, s47, v150                              // 000000006A60: 0B2D2C2F
	v_mul_f32_e32 v151, s47, v151                              // 000000006A64: 0B2F2E2F
	v_mfma_f32_16x16x16_f16 v[56:59], a[96:97], a[8:9], 0      // 000000006A68: D3CD0038 1A021160
	ds_write_b64 v22, v[148:149] offset:31232                  // 000000006A70: D89A7A00 00009416
	v_mfma_f32_16x16x16_f16 v[56:59], a[98:99], a[10:11], v[56:59]// 000000006A78: D3CD0038 1CE21562
	v_mul_f32_e32 v152, s47, v152                              // 000000006A80: 0B31302F
	v_mul_f32_e32 v153, s47, v153                              // 000000006A84: 0B33322F
	v_mfma_f32_16x16x16_f16 v[56:59], a[100:101], a[12:13], v[56:59]// 000000006A88: D3CD0038 1CE21964
	ds_write_b64 v22, v[150:151] offset:31744                  // 000000006A90: D89A7C00 00009616
	v_mfma_f32_16x16x16_f16 v[56:59], a[102:103], a[14:15], v[56:59]// 000000006A98: D3CD0038 1CE21D66
	v_mul_f32_e32 v154, s47, v154                              // 000000006AA0: 0B35342F
	v_mul_f32_e32 v155, s47, v155                              // 000000006AA4: 0B37362F
	v_mfma_f32_16x16x16_f16 v[60:63], a[96:97], a[16:17], 0    // 000000006AA8: D3CD003C 1A022160
	ds_write_b64 v22, v[152:153] offset:32256                  // 000000006AB0: D89A7E00 00009816
	v_mfma_f32_16x16x16_f16 v[60:63], a[98:99], a[18:19], v[60:63]// 000000006AB8: D3CD003C 1CF22562
	buffer_atomic_add_f32 v160, v8, s[32:35], 0 idxen          // 000000006AC0: E1342000 8008A008
	v_mfma_f32_16x16x16_f16 v[60:63], a[100:101], a[20:21], v[60:63]// 000000006AC8: D3CD003C 1CF22964
	ds_write_b64 v22, v[154:155] offset:32768                  // 000000006AD0: D89A8000 00009A16
	v_mfma_f32_16x16x16_f16 v[60:63], a[102:103], a[22:23], v[60:63]// 000000006AD8: D3CD003C 1CF22D66
	v_mfma_f32_16x16x16_f16 v[64:67], a[104:105], a[0:1], 0    // 000000006AE0: D3CD0040 1A020168
	ds_read_b128 v[124:127], v14 offset:13056                  // 000000006AE8: D9FE3300 7C00000E
	ds_write_b32 v13, v36                                      // 000000006AF0: D81A0000 0000240D
	v_mfma_f32_16x16x16_f16 v[64:67], a[106:107], a[2:3], v[64:67]// 000000006AF8: D3CD0040 1D02056A
	buffer_atomic_add_f32 v161, v9, s[32:35], 0 idxen          // 000000006B00: E1342000 8008A109
	v_mfma_f32_16x16x16_f16 v[64:67], a[108:109], a[4:5], v[64:67]// 000000006B08: D3CD0040 1D02096C
	v_mfma_f32_16x16x16_f16 v[64:67], a[110:111], a[6:7], v[64:67]// 000000006B10: D3CD0040 1D020D6E
	ds_read_b128 v[128:131], v14 offset:13568                  // 000000006B18: D9FE3500 8000000E
	ds_write_b32 v13, v37 offset:1056                          // 000000006B20: D81A0420 0000250D
	v_mfma_f32_16x16x16_f16 v[68:71], a[104:105], a[8:9], 0    // 000000006B28: D3CD0044 1A021168
	buffer_atomic_add_f32 v162, v8, s[32:35], 0 idxen offset:128// 000000006B30: E1342080 8008A208
	v_mfma_f32_16x16x16_f16 v[68:71], a[106:107], a[10:11], v[68:71]// 000000006B38: D3CD0044 1D12156A
	v_mfma_f32_16x16x16_f16 v[68:71], a[108:109], a[12:13], v[68:71]// 000000006B40: D3CD0044 1D12196C
	ds_read_b128 v[132:135], v14 offset:15232                  // 000000006B48: D9FE3B80 8400000E
	ds_write_b32 v13, v38 offset:2176                          // 000000006B50: D81A0880 0000260D
	v_mfma_f32_16x16x16_f16 v[68:71], a[110:111], a[14:15], v[68:71]// 000000006B58: D3CD0044 1D121D6E
	v_mfma_f32_16x16x16_f16 v[72:75], a[104:105], a[16:17], 0  // 000000006B60: D3CD0048 1A022168
	buffer_atomic_add_f32 v163, v9, s[32:35], 0 idxen offset:128// 000000006B68: E1342080 8008A309
	v_mfma_f32_16x16x16_f16 v[72:75], a[106:107], a[18:19], v[72:75]// 000000006B70: D3CD0048 1D22256A
	ds_read_b128 v[136:139], v14 offset:15744                  // 000000006B78: D9FE3D80 8800000E
	ds_write_b32 v13, v39 offset:3232                          // 000000006B80: D81A0CA0 0000270D
	v_mfma_f32_16x16x16_f16 v[72:75], a[108:109], a[20:21], v[72:75]// 000000006B88: D3CD0048 1D22296C
	v_mfma_f32_16x16x16_f16 v[72:75], a[110:111], a[22:23], v[72:75]// 000000006B90: D3CD0048 1D222D6E
	s_cmp_lt_i32 s74, 12                                       // 000000006B98: BF048C4A
	s_cbranch_scc0 label_0BD7                                  // 000000006B9C: BF8400E6
	s_mov_b32 s60, 0xffe0fffe                                  // 000000006BA0: BEBC00FF FFE0FFFE
	s_mov_b32 s61, 0xe000fe00                                  // 000000006BA8: BEBD00FF E000FE00
	s_nop 0                                                    // 000000006BB0: BF800000
	s_add_u32 s62, 0, s46                                      // 000000006BB4: 803E2E80
	s_cmp_lt_i32 s74, s62                                      // 000000006BB8: BF043E4A
	s_cbranch_scc1 label_0B21                                  // 000000006BBC: BF850028
	s_cmp_eq_i32 s74, s62                                      // 000000006BC0: BF003E4A
	s_cbranch_scc1 label_0B06                                  // 000000006BC4: BF85000B
	s_add_u32 s62, 4, s46                                      // 000000006BC8: 803E2E84
	s_cmp_lt_i32 s74, s62                                      // 000000006BCC: BF043E4A
	s_cbranch_scc1 label_0B41                                  // 000000006BD0: BF850043
	s_cmp_eq_i32 s74, s62                                      // 000000006BD4: BF003E4A
	s_cbranch_scc1 label_0B26                                  // 000000006BD8: BF850026
	s_add_u32 s62, 8, s46                                      // 000000006BDC: 803E2E88
	s_cmp_lt_i32 s74, s62                                      // 000000006BE0: BF043E4A
	s_cbranch_scc1 label_0B61                                  // 000000006BE4: BF85005E
	s_cmp_eq_i32 s74, s62                                      // 000000006BE8: BF003E4A
	s_cbranch_scc1 label_0B46                                  // 000000006BEC: BF850041
	s_branch label_0B66                                        // 000000006BF0: BF820060

0000000000006bf4 <label_0B06>:
	v_cndmask_b32_e64 v52, v52, v178, s[60:61]                 // 000000006BF4: D1000034 00F36534
	s_lshl_b32 s60, s60, 1                                     // 000000006BFC: 8E3C813C
	s_lshl_b32 s61, s61, 1                                     // 000000006C00: 8E3D813D
	s_and_b32 s60, 0xfffeffff, s60                             // 000000006C04: 863C3CFF FFFEFFFF
	s_and_b32 s61, 0xfffeffff, s61                             // 000000006C0C: 863D3DFF FFFEFFFF
	v_cndmask_b32_e64 v53, v53, v178, s[60:61]                 // 000000006C14: D1000035 00F36535
	s_lshl_b32 s60, s60, 1                                     // 000000006C1C: 8E3C813C
	s_lshl_b32 s61, s61, 1                                     // 000000006C20: 8E3D813D
	s_and_b32 s60, 0xfffeffff, s60                             // 000000006C24: 863C3CFF FFFEFFFF
	s_and_b32 s61, 0xfffeffff, s61                             // 000000006C2C: 863D3DFF FFFEFFFF
	v_cndmask_b32_e64 v54, v54, v178, s[60:61]                 // 000000006C34: D1000036 00F36536
	s_lshl_b32 s60, s60, 1                                     // 000000006C3C: 8E3C813C
	s_lshl_b32 s61, s61, 1                                     // 000000006C40: 8E3D813D
	s_and_b32 s60, 0xfffeffff, s60                             // 000000006C44: 863C3CFF FFFEFFFF
	s_and_b32 s61, 0xfffeffff, s61                             // 000000006C4C: 863D3DFF FFFEFFFF
	v_cndmask_b32_e64 v55, v55, v178, s[60:61]                 // 000000006C54: D1000037 00F36537
	s_branch label_0B41                                        // 000000006C5C: BF820020

0000000000006c60 <label_0B21>:
	v_mov_b32_e32 v52, v178                                    // 000000006C60: 7E6803B2
	v_mov_b32_e32 v53, v178                                    // 000000006C64: 7E6A03B2
	v_mov_b32_e32 v54, v178                                    // 000000006C68: 7E6C03B2
	v_mov_b32_e32 v55, v178                                    // 000000006C6C: 7E6E03B2
	s_branch label_0B41                                        // 000000006C70: BF82001B

0000000000006c74 <label_0B26>:
	v_cndmask_b32_e64 v56, v56, v178, s[60:61]                 // 000000006C74: D1000038 00F36538
	s_lshl_b32 s60, s60, 1                                     // 000000006C7C: 8E3C813C
	s_lshl_b32 s61, s61, 1                                     // 000000006C80: 8E3D813D
	s_and_b32 s60, 0xfffeffff, s60                             // 000000006C84: 863C3CFF FFFEFFFF
	s_and_b32 s61, 0xfffeffff, s61                             // 000000006C8C: 863D3DFF FFFEFFFF
	v_cndmask_b32_e64 v57, v57, v178, s[60:61]                 // 000000006C94: D1000039 00F36539
	s_lshl_b32 s60, s60, 1                                     // 000000006C9C: 8E3C813C
	s_lshl_b32 s61, s61, 1                                     // 000000006CA0: 8E3D813D
	s_and_b32 s60, 0xfffeffff, s60                             // 000000006CA4: 863C3CFF FFFEFFFF
	s_and_b32 s61, 0xfffeffff, s61                             // 000000006CAC: 863D3DFF FFFEFFFF
	v_cndmask_b32_e64 v58, v58, v178, s[60:61]                 // 000000006CB4: D100003A 00F3653A
	s_lshl_b32 s60, s60, 1                                     // 000000006CBC: 8E3C813C
	s_lshl_b32 s61, s61, 1                                     // 000000006CC0: 8E3D813D
	s_and_b32 s60, 0xfffeffff, s60                             // 000000006CC4: 863C3CFF FFFEFFFF
	s_and_b32 s61, 0xfffeffff, s61                             // 000000006CCC: 863D3DFF FFFEFFFF
	v_cndmask_b32_e64 v59, v59, v178, s[60:61]                 // 000000006CD4: D100003B 00F3653B
	s_branch label_0B61                                        // 000000006CDC: BF820020

0000000000006ce0 <label_0B41>:
	v_mov_b32_e32 v56, v178                                    // 000000006CE0: 7E7003B2
	v_mov_b32_e32 v57, v178                                    // 000000006CE4: 7E7203B2
	v_mov_b32_e32 v58, v178                                    // 000000006CE8: 7E7403B2
	v_mov_b32_e32 v59, v178                                    // 000000006CEC: 7E7603B2
	s_branch label_0B61                                        // 000000006CF0: BF82001B

0000000000006cf4 <label_0B46>:
	v_cndmask_b32_e64 v60, v60, v178, s[60:61]                 // 000000006CF4: D100003C 00F3653C
	s_lshl_b32 s60, s60, 1                                     // 000000006CFC: 8E3C813C
	s_lshl_b32 s61, s61, 1                                     // 000000006D00: 8E3D813D
	s_and_b32 s60, 0xfffeffff, s60                             // 000000006D04: 863C3CFF FFFEFFFF
	s_and_b32 s61, 0xfffeffff, s61                             // 000000006D0C: 863D3DFF FFFEFFFF
	v_cndmask_b32_e64 v61, v61, v178, s[60:61]                 // 000000006D14: D100003D 00F3653D
	s_lshl_b32 s60, s60, 1                                     // 000000006D1C: 8E3C813C
	s_lshl_b32 s61, s61, 1                                     // 000000006D20: 8E3D813D
	s_and_b32 s60, 0xfffeffff, s60                             // 000000006D24: 863C3CFF FFFEFFFF
	s_and_b32 s61, 0xfffeffff, s61                             // 000000006D2C: 863D3DFF FFFEFFFF
	v_cndmask_b32_e64 v62, v62, v178, s[60:61]                 // 000000006D34: D100003E 00F3653E
	s_lshl_b32 s60, s60, 1                                     // 000000006D3C: 8E3C813C
	s_lshl_b32 s61, s61, 1                                     // 000000006D40: 8E3D813D
	s_and_b32 s60, 0xfffeffff, s60                             // 000000006D44: 863C3CFF FFFEFFFF
	s_and_b32 s61, 0xfffeffff, s61                             // 000000006D4C: 863D3DFF FFFEFFFF
	v_cndmask_b32_e64 v63, v63, v178, s[60:61]                 // 000000006D54: D100003F 00F3653F
	s_branch label_0B66                                        // 000000006D5C: BF820005

0000000000006d60 <label_0B61>:
	v_mov_b32_e32 v60, v178                                    // 000000006D60: 7E7803B2
	v_mov_b32_e32 v61, v178                                    // 000000006D64: 7E7A03B2
	v_mov_b32_e32 v62, v178                                    // 000000006D68: 7E7C03B2
	v_mov_b32_e32 v63, v178                                    // 000000006D6C: 7E7E03B2
	s_branch label_0B66                                        // 000000006D70: BF820000

0000000000006d74 <label_0B66>:
	s_addk_i32 s74, 0x1                                        // 000000006D74: B74A0001
	s_add_u32 s62, 0, s46                                      // 000000006D78: 803E2E80
	s_cmp_lt_i32 s74, s62                                      // 000000006D7C: BF043E4A
	s_cbranch_scc1 label_0B92                                  // 000000006D80: BF850028
	s_cmp_eq_i32 s74, s62                                      // 000000006D84: BF003E4A
	s_cbranch_scc1 label_0B77                                  // 000000006D88: BF85000B
	s_add_u32 s62, 4, s46                                      // 000000006D8C: 803E2E84
	s_cmp_lt_i32 s74, s62                                      // 000000006D90: BF043E4A
	s_cbranch_scc1 label_0BB2                                  // 000000006D94: BF850043
	s_cmp_eq_i32 s74, s62                                      // 000000006D98: BF003E4A
	s_cbranch_scc1 label_0B97                                  // 000000006D9C: BF850026
	s_add_u32 s62, 8, s46                                      // 000000006DA0: 803E2E88
	s_cmp_lt_i32 s74, s62                                      // 000000006DA4: BF043E4A
	s_cbranch_scc1 label_0BD2                                  // 000000006DA8: BF85005E
	s_cmp_eq_i32 s74, s62                                      // 000000006DAC: BF003E4A
	s_cbranch_scc1 label_0BB7                                  // 000000006DB0: BF850041
	s_branch label_0BD7                                        // 000000006DB4: BF820060

0000000000006db8 <label_0B77>:
	v_cndmask_b32_e64 v64, v64, v178, s[60:61]                 // 000000006DB8: D1000040 00F36540
	s_lshl_b32 s60, s60, 1                                     // 000000006DC0: 8E3C813C
	s_lshl_b32 s61, s61, 1                                     // 000000006DC4: 8E3D813D
	s_and_b32 s60, 0xfffeffff, s60                             // 000000006DC8: 863C3CFF FFFEFFFF
	s_and_b32 s61, 0xfffeffff, s61                             // 000000006DD0: 863D3DFF FFFEFFFF
	v_cndmask_b32_e64 v65, v65, v178, s[60:61]                 // 000000006DD8: D1000041 00F36541
	s_lshl_b32 s60, s60, 1                                     // 000000006DE0: 8E3C813C
	s_lshl_b32 s61, s61, 1                                     // 000000006DE4: 8E3D813D
	s_and_b32 s60, 0xfffeffff, s60                             // 000000006DE8: 863C3CFF FFFEFFFF
	s_and_b32 s61, 0xfffeffff, s61                             // 000000006DF0: 863D3DFF FFFEFFFF
	v_cndmask_b32_e64 v66, v66, v178, s[60:61]                 // 000000006DF8: D1000042 00F36542
	s_lshl_b32 s60, s60, 1                                     // 000000006E00: 8E3C813C
	s_lshl_b32 s61, s61, 1                                     // 000000006E04: 8E3D813D
	s_and_b32 s60, 0xfffeffff, s60                             // 000000006E08: 863C3CFF FFFEFFFF
	s_and_b32 s61, 0xfffeffff, s61                             // 000000006E10: 863D3DFF FFFEFFFF
	v_cndmask_b32_e64 v67, v67, v178, s[60:61]                 // 000000006E18: D1000043 00F36543
	s_branch label_0BB2                                        // 000000006E20: BF820020

0000000000006e24 <label_0B92>:
	v_mov_b32_e32 v64, v178                                    // 000000006E24: 7E8003B2
	v_mov_b32_e32 v65, v178                                    // 000000006E28: 7E8203B2
	v_mov_b32_e32 v66, v178                                    // 000000006E2C: 7E8403B2
	v_mov_b32_e32 v67, v178                                    // 000000006E30: 7E8603B2
	s_branch label_0BB2                                        // 000000006E34: BF82001B

0000000000006e38 <label_0B97>:
	v_cndmask_b32_e64 v68, v68, v178, s[60:61]                 // 000000006E38: D1000044 00F36544
	s_lshl_b32 s60, s60, 1                                     // 000000006E40: 8E3C813C
	s_lshl_b32 s61, s61, 1                                     // 000000006E44: 8E3D813D
	s_and_b32 s60, 0xfffeffff, s60                             // 000000006E48: 863C3CFF FFFEFFFF
	s_and_b32 s61, 0xfffeffff, s61                             // 000000006E50: 863D3DFF FFFEFFFF
	v_cndmask_b32_e64 v69, v69, v178, s[60:61]                 // 000000006E58: D1000045 00F36545
	s_lshl_b32 s60, s60, 1                                     // 000000006E60: 8E3C813C
	s_lshl_b32 s61, s61, 1                                     // 000000006E64: 8E3D813D
	s_and_b32 s60, 0xfffeffff, s60                             // 000000006E68: 863C3CFF FFFEFFFF
	s_and_b32 s61, 0xfffeffff, s61                             // 000000006E70: 863D3DFF FFFEFFFF
	v_cndmask_b32_e64 v70, v70, v178, s[60:61]                 // 000000006E78: D1000046 00F36546
	s_lshl_b32 s60, s60, 1                                     // 000000006E80: 8E3C813C
	s_lshl_b32 s61, s61, 1                                     // 000000006E84: 8E3D813D
	s_and_b32 s60, 0xfffeffff, s60                             // 000000006E88: 863C3CFF FFFEFFFF
	s_and_b32 s61, 0xfffeffff, s61                             // 000000006E90: 863D3DFF FFFEFFFF
	v_cndmask_b32_e64 v71, v71, v178, s[60:61]                 // 000000006E98: D1000047 00F36547
	s_branch label_0BD2                                        // 000000006EA0: BF820020

0000000000006ea4 <label_0BB2>:
	v_mov_b32_e32 v68, v178                                    // 000000006EA4: 7E8803B2
	v_mov_b32_e32 v69, v178                                    // 000000006EA8: 7E8A03B2
	v_mov_b32_e32 v70, v178                                    // 000000006EAC: 7E8C03B2
	v_mov_b32_e32 v71, v178                                    // 000000006EB0: 7E8E03B2
	s_branch label_0BD2                                        // 000000006EB4: BF82001B

0000000000006eb8 <label_0BB7>:
	v_cndmask_b32_e64 v72, v72, v178, s[60:61]                 // 000000006EB8: D1000048 00F36548
	s_lshl_b32 s60, s60, 1                                     // 000000006EC0: 8E3C813C
	s_lshl_b32 s61, s61, 1                                     // 000000006EC4: 8E3D813D
	s_and_b32 s60, 0xfffeffff, s60                             // 000000006EC8: 863C3CFF FFFEFFFF
	s_and_b32 s61, 0xfffeffff, s61                             // 000000006ED0: 863D3DFF FFFEFFFF
	v_cndmask_b32_e64 v73, v73, v178, s[60:61]                 // 000000006ED8: D1000049 00F36549
	s_lshl_b32 s60, s60, 1                                     // 000000006EE0: 8E3C813C
	s_lshl_b32 s61, s61, 1                                     // 000000006EE4: 8E3D813D
	s_and_b32 s60, 0xfffeffff, s60                             // 000000006EE8: 863C3CFF FFFEFFFF
	s_and_b32 s61, 0xfffeffff, s61                             // 000000006EF0: 863D3DFF FFFEFFFF
	v_cndmask_b32_e64 v74, v74, v178, s[60:61]                 // 000000006EF8: D100004A 00F3654A
	s_lshl_b32 s60, s60, 1                                     // 000000006F00: 8E3C813C
	s_lshl_b32 s61, s61, 1                                     // 000000006F04: 8E3D813D
	s_and_b32 s60, 0xfffeffff, s60                             // 000000006F08: 863C3CFF FFFEFFFF
	s_and_b32 s61, 0xfffeffff, s61                             // 000000006F10: 863D3DFF FFFEFFFF
	v_cndmask_b32_e64 v75, v75, v178, s[60:61]                 // 000000006F18: D100004B 00F3654B
	s_branch label_0BD7                                        // 000000006F20: BF820005

0000000000006f24 <label_0BD2>:
	v_mov_b32_e32 v72, v178                                    // 000000006F24: 7E9003B2
	v_mov_b32_e32 v73, v178                                    // 000000006F28: 7E9203B2
	v_mov_b32_e32 v74, v178                                    // 000000006F2C: 7E9403B2
	v_mov_b32_e32 v75, v178                                    // 000000006F30: 7E9603B2
	s_branch label_0BD7                                        // 000000006F34: BF820000

0000000000006f38 <label_0BD7>:
	s_cmp_lt_i32 s84, 0xc0                                     // 000000006F38: BF04FF54 000000C0
	s_cbranch_scc0 label_0C50                                  // 000000006F40: BF84006D
	s_cmp_le_i32 s84, 64                                       // 000000006F44: BF05C054
	s_cbranch_scc1 label_0BE3                                  // 000000006F48: BF850007
	s_cmp_le_i32 s84, 0x80                                     // 000000006F4C: BF05FF54 00000080
	s_cbranch_scc1 label_0C07                                  // 000000006F54: BF85001F
	s_cmp_lt_i32 s84, 0xc0                                     // 000000006F58: BF04FF54 000000C0
	s_cbranch_scc1 label_0C2B                                  // 000000006F60: BF850040
	s_branch label_0C50                                        // 000000006F64: BF820064

0000000000006f68 <label_0BE3>:
	s_mov_b32 s60, 0                                           // 000000006F68: BEBC0080
	v_and_b32_e32 v32, 15, v0                                  // 000000006F6C: 2640008F
	v_add_u32_e64 v32, v32, s60                                // 000000006F70: D1340020 00007920
	v_mul_i32_i24_e64 v33, s46, 16                             // 000000006F78: D1060021 0001202E
	v_add_u32_e32 v32, v32, v33                                // 000000006F80: 68404320
	v_cmp_lt_u32_e64 s[60:61], v32, s84                        // 000000006F84: D0C9003C 0000A920
	s_nop 1                                                    // 000000006F8C: BF800001
	v_cndmask_b32_e64 v52, v178, v52, s[60:61]                 // 000000006F90: D1000034 00F269B2
	v_cndmask_b32_e64 v64, v178, v64, s[60:61]                 // 000000006F98: D1000040 00F281B2
	v_cndmask_b32_e64 v53, v178, v53, s[60:61]                 // 000000006FA0: D1000035 00F26BB2
	v_cndmask_b32_e64 v65, v178, v65, s[60:61]                 // 000000006FA8: D1000041 00F283B2
	v_cndmask_b32_e64 v54, v178, v54, s[60:61]                 // 000000006FB0: D1000036 00F26DB2
	v_cndmask_b32_e64 v66, v178, v66, s[60:61]                 // 000000006FB8: D1000042 00F285B2
	v_cndmask_b32_e64 v55, v178, v55, s[60:61]                 // 000000006FC0: D1000037 00F26FB2
	v_cndmask_b32_e64 v67, v178, v67, s[60:61]                 // 000000006FC8: D1000043 00F287B2
	s_branch label_0C22                                        // 000000006FD0: BF82001B

0000000000006fd4 <label_0C07>:
	s_mov_b32 s60, 64                                          // 000000006FD4: BEBC00C0
	v_and_b32_e32 v32, 15, v0                                  // 000000006FD8: 2640008F
	v_add_u32_e64 v32, v32, s60                                // 000000006FDC: D1340020 00007920
	v_mul_i32_i24_e64 v33, s46, 16                             // 000000006FE4: D1060021 0001202E
	v_add_u32_e32 v32, v32, v33                                // 000000006FEC: 68404320
	v_cmp_lt_u32_e64 s[60:61], v32, s84                        // 000000006FF0: D0C9003C 0000A920
	s_nop 1                                                    // 000000006FF8: BF800001
	v_cndmask_b32_e64 v56, v178, v56, s[60:61]                 // 000000006FFC: D1000038 00F271B2
	v_cndmask_b32_e64 v68, v178, v68, s[60:61]                 // 000000007004: D1000044 00F289B2
	v_cndmask_b32_e64 v57, v178, v57, s[60:61]                 // 00000000700C: D1000039 00F273B2
	v_cndmask_b32_e64 v69, v178, v69, s[60:61]                 // 000000007014: D1000045 00F28BB2
	v_cndmask_b32_e64 v58, v178, v58, s[60:61]                 // 00000000701C: D100003A 00F275B2
	v_cndmask_b32_e64 v70, v178, v70, s[60:61]                 // 000000007024: D1000046 00F28DB2
	v_cndmask_b32_e64 v59, v178, v59, s[60:61]                 // 00000000702C: D100003B 00F277B2
	v_cndmask_b32_e64 v71, v178, v71, s[60:61]                 // 000000007034: D1000047 00F28FB2
	s_branch label_0C47                                        // 00000000703C: BF820025

0000000000007040 <label_0C22>:
	v_mov_b32_e32 v56, v178                                    // 000000007040: 7E7003B2
	v_mov_b32_e32 v68, v178                                    // 000000007044: 7E8803B2
	v_mov_b32_e32 v57, v178                                    // 000000007048: 7E7203B2
	v_mov_b32_e32 v69, v178                                    // 00000000704C: 7E8A03B2
	v_mov_b32_e32 v58, v178                                    // 000000007050: 7E7403B2
	v_mov_b32_e32 v70, v178                                    // 000000007054: 7E8C03B2
	v_mov_b32_e32 v59, v178                                    // 000000007058: 7E7603B2
	v_mov_b32_e32 v71, v178                                    // 00000000705C: 7E8E03B2
	s_branch label_0C47                                        // 000000007060: BF82001C

0000000000007064 <label_0C2B>:
	s_mov_b32 s60, 0x80                                        // 000000007064: BEBC00FF 00000080
	v_and_b32_e32 v32, 15, v0                                  // 00000000706C: 2640008F
	v_add_u32_e64 v32, v32, s60                                // 000000007070: D1340020 00007920
	v_mul_i32_i24_e64 v33, s46, 16                             // 000000007078: D1060021 0001202E
	v_add_u32_e32 v32, v32, v33                                // 000000007080: 68404320
	v_cmp_lt_u32_e64 s[60:61], v32, s84                        // 000000007084: D0C9003C 0000A920
	s_nop 1                                                    // 00000000708C: BF800001
	v_cndmask_b32_e64 v60, v178, v60, s[60:61]                 // 000000007090: D100003C 00F279B2
	v_cndmask_b32_e64 v72, v178, v72, s[60:61]                 // 000000007098: D1000048 00F291B2
	v_cndmask_b32_e64 v61, v178, v61, s[60:61]                 // 0000000070A0: D100003D 00F27BB2
	v_cndmask_b32_e64 v73, v178, v73, s[60:61]                 // 0000000070A8: D1000049 00F293B2
	v_cndmask_b32_e64 v62, v178, v62, s[60:61]                 // 0000000070B0: D100003E 00F27DB2
	v_cndmask_b32_e64 v74, v178, v74, s[60:61]                 // 0000000070B8: D100004A 00F295B2
	v_cndmask_b32_e64 v63, v178, v63, s[60:61]                 // 0000000070C0: D100003F 00F27FB2
	v_cndmask_b32_e64 v75, v178, v75, s[60:61]                 // 0000000070C8: D100004B 00F297B2
	s_branch label_0C50                                        // 0000000070D0: BF820009

00000000000070d4 <label_0C47>:
	v_mov_b32_e32 v60, v178                                    // 0000000070D4: 7E7803B2
	v_mov_b32_e32 v72, v178                                    // 0000000070D8: 7E9003B2
	v_mov_b32_e32 v61, v178                                    // 0000000070DC: 7E7A03B2
	v_mov_b32_e32 v73, v178                                    // 0000000070E0: 7E9203B2
	v_mov_b32_e32 v62, v178                                    // 0000000070E4: 7E7C03B2
	v_mov_b32_e32 v74, v178                                    // 0000000070E8: 7E9403B2
	v_mov_b32_e32 v63, v178                                    // 0000000070EC: 7E7E03B2
	v_mov_b32_e32 v75, v178                                    // 0000000070F0: 7E9603B2
	s_branch label_0C50                                        // 0000000070F4: BF820000

00000000000070f8 <label_0C50>:
	s_addk_i32 s74, 0x1                                        // 0000000070F8: B74A0001
	s_waitcnt lgkmcnt(8)                                       // 0000000070FC: BF8CC87F
	s_barrier                                                  // 000000007100: BF8A0000
	v_mfma_f32_16x16x16_f16 v[76:79], v[108:109], a[72:73], 0  // 000000007104: D3CD004C 1202916C
	ds_read_b128 a[96:99], v14 offset:4352                     // 00000000710C: DBFE1100 6000000E
	ds_read_b128 a[100:103], v14 offset:4864                   // 000000007114: DBFE1300 6400000E
	v_mfma_f32_16x16x16_f16 v[76:79], v[110:111], a[74:75], v[76:79]// 00000000711C: D3CD004C 1532956E
	v_fma_f32 v52, v52, s57, -v140                             // 000000007124: D1CB0034 86307334
	v_fma_f32 v53, v53, s57, -v141                             // 00000000712C: D1CB0035 86347335
	v_fma_f32 v54, v54, s57, -v142                             // 000000007134: D1CB0036 86387336
	v_fma_f32 v55, v55, s57, -v143                             // 00000000713C: D1CB0037 863C7337
	v_fma_f32 v56, v56, s57, -v140                             // 000000007144: D1CB0038 86307338
	v_fma_f32 v57, v57, s57, -v141                             // 00000000714C: D1CB0039 86347339
	v_mfma_f32_16x16x16_f16 v[76:79], v[112:113], a[76:77], v[76:79]// 000000007154: D3CD004C 15329970
	v_fma_f32 v58, v58, s57, -v142                             // 00000000715C: D1CB003A 8638733A
	v_fma_f32 v59, v59, s57, -v143                             // 000000007164: D1CB003B 863C733B
	v_fma_f32 v60, v60, s57, -v140                             // 00000000716C: D1CB003C 8630733C
	v_fma_f32 v61, v61, s57, -v141                             // 000000007174: D1CB003D 8634733D
	v_fma_f32 v62, v62, s57, -v142                             // 00000000717C: D1CB003E 8638733E
	v_fma_f32 v63, v63, s57, -v143                             // 000000007184: D1CB003F 863C733F
	v_mfma_f32_16x16x16_f16 v[76:79], v[114:115], a[78:79], v[76:79]// 00000000718C: D3CD004C 15329D72
	v_fma_f32 v64, v64, s57, -v144                             // 000000007194: D1CB0040 86407340
	v_fma_f32 v65, v65, s57, -v145                             // 00000000719C: D1CB0041 86447341
	v_fma_f32 v66, v66, s57, -v146                             // 0000000071A4: D1CB0042 86487342
	v_fma_f32 v67, v67, s57, -v147                             // 0000000071AC: D1CB0043 864C7343
	v_fma_f32 v68, v68, s57, -v144                             // 0000000071B4: D1CB0044 86407344
	v_fma_f32 v69, v69, s57, -v145                             // 0000000071BC: D1CB0045 86447345
	v_mfma_f32_16x16x16_f16 v[80:83], v[108:109], a[80:81], 0  // 0000000071C4: D3CD0050 1202A16C
	ds_read_b128 a[104:107], v14 offset:6528                   // 0000000071CC: DBFE1980 6800000E
	ds_read_b128 a[108:111], v14 offset:7040                   // 0000000071D4: DBFE1B80 6C00000E
	v_mfma_f32_16x16x16_f16 v[80:83], v[110:111], a[82:83], v[80:83]// 0000000071DC: D3CD0050 1542A56E
	v_fma_f32 v70, v70, s57, -v146                             // 0000000071E4: D1CB0046 86487346
	v_fma_f32 v71, v71, s57, -v147                             // 0000000071EC: D1CB0047 864C7347
	v_fma_f32 v72, v72, s57, -v144                             // 0000000071F4: D1CB0048 86407348
	v_fma_f32 v73, v73, s57, -v145                             // 0000000071FC: D1CB0049 86447349
	v_fma_f32 v74, v74, s57, -v146                             // 000000007204: D1CB004A 8648734A
	v_fma_f32 v75, v75, s57, -v147                             // 00000000720C: D1CB004B 864C734B
	v_mfma_f32_16x16x16_f16 v[80:83], v[112:113], a[84:85], v[80:83]// 000000007214: D3CD0050 1542A970
	v_exp_f32_e32 v52, v52                                     // 00000000721C: 7E684134
	v_exp_f32_e32 v53, v53                                     // 000000007220: 7E6A4135
	v_mfma_f32_16x16x16_f16 v[80:83], v[114:115], a[86:87], v[80:83]// 000000007224: D3CD0050 1542AD72
	v_exp_f32_e32 v54, v54                                     // 00000000722C: 7E6C4136
	v_exp_f32_e32 v55, v55                                     // 000000007230: 7E6E4137
	v_mfma_f32_16x16x16_f16 v[84:87], v[108:109], a[88:89], 0  // 000000007234: D3CD0054 1202B16C
	ds_read_b64 v[156:157], v21 offset:31232                   // 00000000723C: D8EC7A00 9C000015
	ds_read_b64 v[158:159], v21 offset:33280                   // 000000007244: D8EC8200 9E000015
	v_mfma_f32_16x16x16_f16 v[84:87], v[110:111], a[90:91], v[84:87]// 00000000724C: D3CD0054 1552B56E
	v_exp_f32_e32 v56, v56                                     // 000000007254: 7E704138
	v_exp_f32_e32 v57, v57                                     // 000000007258: 7E724139
	v_mfma_f32_16x16x16_f16 v[84:87], v[112:113], a[92:93], v[84:87]// 00000000725C: D3CD0054 1552B970
	ds_read_b64 v[160:161], v21 offset:35328                   // 000000007264: D8EC8A00 A0000015
	ds_read_b64 v[162:163], v21 offset:37376                   // 00000000726C: D8EC9200 A2000015
	v_mfma_f32_16x16x16_f16 v[84:87], v[114:115], a[94:95], v[84:87]// 000000007274: D3CD0054 1552BD72
	v_exp_f32_e32 v58, v58                                     // 00000000727C: 7E74413A
	v_exp_f32_e32 v59, v59                                     // 000000007280: 7E76413B
	v_mfma_f32_16x16x16_f16 v[88:91], v[116:117], a[72:73], 0  // 000000007284: D3CD0058 12029174
	v_exp_f32_e32 v60, v60                                     // 00000000728C: 7E78413C
	v_exp_f32_e32 v61, v61                                     // 000000007290: 7E7A413D
	v_mfma_f32_16x16x16_f16 v[88:91], v[118:119], a[74:75], v[88:91]// 000000007294: D3CD0058 15629576
	v_exp_f32_e32 v62, v62                                     // 00000000729C: 7E7C413E
	v_exp_f32_e32 v63, v63                                     // 0000000072A0: 7E7E413F
	v_mfma_f32_16x16x16_f16 v[88:91], v[120:121], a[76:77], v[88:91]// 0000000072A4: D3CD0058 15629978
	v_exp_f32_e32 v64, v64                                     // 0000000072AC: 7E804140
	v_exp_f32_e32 v65, v65                                     // 0000000072B0: 7E824141
	v_mfma_f32_16x16x16_f16 v[88:91], v[122:123], a[78:79], v[88:91]// 0000000072B4: D3CD0058 15629D7A
	v_exp_f32_e32 v66, v66                                     // 0000000072BC: 7E844142
	v_exp_f32_e32 v67, v67                                     // 0000000072C0: 7E864143
	v_mfma_f32_16x16x16_f16 v[92:95], v[116:117], a[80:81], 0  // 0000000072C4: D3CD005C 1202A174
	v_exp_f32_e32 v68, v68                                     // 0000000072CC: 7E884144
	v_exp_f32_e32 v69, v69                                     // 0000000072D0: 7E8A4145
	v_mfma_f32_16x16x16_f16 v[92:95], v[118:119], a[82:83], v[92:95]// 0000000072D4: D3CD005C 1572A576
	v_exp_f32_e32 v70, v70                                     // 0000000072DC: 7E8C4146
	v_exp_f32_e32 v71, v71                                     // 0000000072E0: 7E8E4147
	v_mfma_f32_16x16x16_f16 v[92:95], v[120:121], a[84:85], v[92:95]// 0000000072E4: D3CD005C 1572A978
	v_exp_f32_e32 v72, v72                                     // 0000000072EC: 7E904148
	v_exp_f32_e32 v73, v73                                     // 0000000072F0: 7E924149
	v_mfma_f32_16x16x16_f16 v[92:95], v[122:123], a[86:87], v[92:95]// 0000000072F4: D3CD005C 1572AD7A
	v_exp_f32_e32 v74, v74                                     // 0000000072FC: 7E94414A
	v_exp_f32_e32 v75, v75                                     // 000000007300: 7E96414B
	v_mfma_f32_16x16x16_f16 v[96:99], v[116:117], a[88:89], 0  // 000000007304: D3CD0060 1202B174
	v_cvt_pkrtz_f16_f32 v164, v52, v53                         // 00000000730C: D29600A4 00026B34
	v_cvt_pkrtz_f16_f32 v165, v54, v55                         // 000000007314: D29600A5 00026F36
	v_cvt_pkrtz_f16_f32 v166, v56, v57                         // 00000000731C: D29600A6 00027338
	v_cvt_pkrtz_f16_f32 v167, v58, v59                         // 000000007324: D29600A7 0002773A
	v_cvt_pkrtz_f16_f32 v168, v60, v61                         // 00000000732C: D29600A8 00027B3C
	v_cvt_pkrtz_f16_f32 v169, v62, v63                         // 000000007334: D29600A9 00027F3E
	v_mfma_f32_16x16x16_f16 v[96:99], v[118:119], a[90:91], v[96:99]// 00000000733C: D3CD0060 1582B576
	v_cvt_pkrtz_f16_f32 v170, v64, v65                         // 000000007344: D29600AA 00028340
	v_cvt_pkrtz_f16_f32 v171, v66, v67                         // 00000000734C: D29600AB 00028742
	v_cvt_pkrtz_f16_f32 v172, v68, v69                         // 000000007354: D29600AC 00028B44
	v_cvt_pkrtz_f16_f32 v173, v70, v71                         // 00000000735C: D29600AD 00028F46
	v_cvt_pkrtz_f16_f32 v174, v72, v73                         // 000000007364: D29600AE 00029348
	v_cvt_pkrtz_f16_f32 v175, v74, v75                         // 00000000736C: D29600AF 0002974A
	v_mfma_f32_16x16x16_f16 v[96:99], v[120:121], a[92:93], v[96:99]// 000000007374: D3CD0060 1582B978
	v_add_u32_e32 v6, s66, v6                                  // 00000000737C: 680C0C42
	v_add_u32_e32 v7, s66, v7                                  // 000000007380: 680E0E42
	v_add_u32_e32 v8, s66, v8                                  // 000000007384: 68101042
	v_add_u32_e32 v9, s66, v9                                  // 000000007388: 68121242
	v_mfma_f32_16x16x16_f16 v[96:99], v[122:123], a[94:95], v[96:99]// 00000000738C: D3CD0060 1582BD7A
	s_waitcnt lgkmcnt(0)                                       // 000000007394: BF8CC07F
	s_barrier                                                  // 000000007398: BF8A0000
	v_mfma_f32_16x16x16_f16 v[180:183], v[124:125], v[164:165], v[180:183]// 00000000739C: D3CD00B4 06D3497C
	v_subrev_f32_dpp v76, v176, v76 quad_perm:[0,0,0,0] row_mask:0xf bank_mask:0xf// 0000000073A4: 069898FA FF0000B0
	v_subrev_f32_dpp v77, v176, v77 quad_perm:[1,1,1,1] row_mask:0xf bank_mask:0xf// 0000000073AC: 069A9AFA FF0055B0
	v_subrev_f32_dpp v78, v176, v78 quad_perm:[2,2,2,2] row_mask:0xf bank_mask:0xf// 0000000073B4: 069C9CFA FF00AAB0
	v_subrev_f32_dpp v79, v176, v79 quad_perm:[3,3,3,3] row_mask:0xf bank_mask:0xf// 0000000073BC: 069E9EFA FF00FFB0
	v_subrev_f32_dpp v80, v176, v80 quad_perm:[0,0,0,0] row_mask:0xf bank_mask:0xf// 0000000073C4: 06A0A0FA FF0000B0
	v_subrev_f32_dpp v81, v176, v81 quad_perm:[1,1,1,1] row_mask:0xf bank_mask:0xf// 0000000073CC: 06A2A2FA FF0055B0
	v_mfma_f32_16x16x16_f16 v[184:187], v[126:127], v[164:165], v[184:187]// 0000000073D4: D3CD00B8 06E3497E
	v_subrev_f32_dpp v82, v176, v82 quad_perm:[2,2,2,2] row_mask:0xf bank_mask:0xf// 0000000073DC: 06A4A4FA FF00AAB0
	v_subrev_f32_dpp v83, v176, v83 quad_perm:[3,3,3,3] row_mask:0xf bank_mask:0xf// 0000000073E4: 06A6A6FA FF00FFB0
	v_subrev_f32_dpp v84, v176, v84 quad_perm:[0,0,0,0] row_mask:0xf bank_mask:0xf// 0000000073EC: 06A8A8FA FF0000B0
	v_subrev_f32_dpp v85, v176, v85 quad_perm:[1,1,1,1] row_mask:0xf bank_mask:0xf// 0000000073F4: 06AAAAFA FF0055B0
	v_subrev_f32_dpp v86, v176, v86 quad_perm:[2,2,2,2] row_mask:0xf bank_mask:0xf// 0000000073FC: 06ACACFA FF00AAB0
	v_subrev_f32_dpp v87, v176, v87 quad_perm:[3,3,3,3] row_mask:0xf bank_mask:0xf// 000000007404: 06AEAEFA FF00FFB0
	v_mfma_f32_16x16x16_f16 v[188:191], v[128:129], v[164:165], v[188:191]// 00000000740C: D3CD00BC 06F34980
	v_mul_f32_e32 v76, v52, v76                                // 000000007414: 0A989934
	v_mul_f32_e32 v77, v53, v77                                // 000000007418: 0A9A9B35
	v_mul_f32_e32 v78, v54, v78                                // 00000000741C: 0A9C9D36
	v_mul_f32_e32 v79, v55, v79                                // 000000007420: 0A9E9F37
	v_mul_f32_e32 v80, v56, v80                                // 000000007424: 0AA0A138
	v_mul_f32_e32 v81, v57, v81                                // 000000007428: 0AA2A339
	v_mfma_f32_16x16x16_f16 v[192:195], v[130:131], v[164:165], v[192:195]// 00000000742C: D3CD00C0 07034982
	v_mul_f32_e32 v82, v58, v82                                // 000000007434: 0AA4A53A
	v_mul_f32_e32 v83, v59, v83                                // 000000007438: 0AA6A73B
	v_mul_f32_e32 v84, v60, v84                                // 00000000743C: 0AA8A93C
	v_mul_f32_e32 v85, v61, v85                                // 000000007440: 0AAAAB3D
	v_mul_f32_e32 v86, v62, v86                                // 000000007444: 0AACAD3E
	v_mul_f32_e32 v87, v63, v87                                // 000000007448: 0AAEAF3F
	v_mfma_f32_16x16x16_f16 v[196:199], v[124:125], v[166:167], v[196:199]// 00000000744C: D3CD00C4 07134D7C
	v_cvt_pkrtz_f16_f32 v76, v76, v77                          // 000000007454: D296004C 00029B4C
	v_cvt_pkrtz_f16_f32 v77, v78, v79                          // 00000000745C: D296004D 00029F4E
	v_cvt_pkrtz_f16_f32 v78, v80, v81                          // 000000007464: D296004E 0002A350
	v_cvt_pkrtz_f16_f32 v79, v82, v83                          // 00000000746C: D296004F 0002A752
	v_cvt_pkrtz_f16_f32 v80, v84, v85                          // 000000007474: D2960050 0002AB54
	v_cvt_pkrtz_f16_f32 v81, v86, v87                          // 00000000747C: D2960051 0002AF56
	v_mfma_f32_16x16x16_f16 v[200:203], v[126:127], v[166:167], v[200:203]// 000000007484: D3CD00C8 07234D7E
	v_mov_b32_dpp v18, v76 quad_perm:[1,0,3,2] row_mask:0xf bank_mask:0xf// 00000000748C: 7E2402FA FF00B14C
	v_perm_b32 v52, v18, v76, v17                              // 000000007494: D1ED0034 04469912
	v_mov_b32_dpp v18, v77 quad_perm:[1,0,3,2] row_mask:0xf bank_mask:0xf// 00000000749C: 7E2402FA FF00B14D
	v_perm_b32 v53, v18, v77, v17                              // 0000000074A4: D1ED0035 04469B12
	v_mov_b32_dpp v18, v78 quad_perm:[1,0,3,2] row_mask:0xf bank_mask:0xf// 0000000074AC: 7E2402FA FF00B14E
	v_perm_b32 v54, v18, v78, v17                              // 0000000074B4: D1ED0036 04469D12
	v_mfma_f32_16x16x16_f16 v[204:207], v[128:129], v[166:167], v[204:207]// 0000000074BC: D3CD00CC 07334D80
	v_mov_b32_dpp v18, v79 quad_perm:[1,0,3,2] row_mask:0xf bank_mask:0xf// 0000000074C4: 7E2402FA FF00B14F
	v_perm_b32 v55, v18, v79, v17                              // 0000000074CC: D1ED0037 04469F12
	v_mov_b32_dpp v18, v80 quad_perm:[1,0,3,2] row_mask:0xf bank_mask:0xf// 0000000074D4: 7E2402FA FF00B150
	v_perm_b32 v56, v18, v80, v17                              // 0000000074DC: D1ED0038 0446A112
	v_mov_b32_dpp v18, v81 quad_perm:[1,0,3,2] row_mask:0xf bank_mask:0xf// 0000000074E4: 7E2402FA FF00B151
	v_perm_b32 v57, v18, v81, v17                              // 0000000074EC: D1ED0039 0446A312
	v_mfma_f32_16x16x16_f16 v[208:211], v[130:131], v[166:167], v[208:211]// 0000000074F4: D3CD00D0 07434D82
	ds_write_b32 v20, v52 offset:17408                         // 0000000074FC: D81A4400 00003414
	ds_write_b32 v20, v53 offset:17952                         // 000000007504: D81A4620 00003514
	v_mfma_f32_16x16x16_f16 v[212:215], v[124:125], v[168:169], v[212:215]// 00000000750C: D3CD00D4 0753517C
	v_subrev_f32_dpp v88, v177, v88 quad_perm:[0,0,0,0] row_mask:0xf bank_mask:0xf// 000000007514: 06B0B0FA FF0000B1
	v_subrev_f32_dpp v89, v177, v89 quad_perm:[1,1,1,1] row_mask:0xf bank_mask:0xf// 00000000751C: 06B2B2FA FF0055B1
	v_subrev_f32_dpp v90, v177, v90 quad_perm:[2,2,2,2] row_mask:0xf bank_mask:0xf// 000000007524: 06B4B4FA FF00AAB1
	v_subrev_f32_dpp v91, v177, v91 quad_perm:[3,3,3,3] row_mask:0xf bank_mask:0xf// 00000000752C: 06B6B6FA FF00FFB1
	v_subrev_f32_dpp v92, v177, v92 quad_perm:[0,0,0,0] row_mask:0xf bank_mask:0xf// 000000007534: 06B8B8FA FF0000B1
	v_subrev_f32_dpp v93, v177, v93 quad_perm:[1,1,1,1] row_mask:0xf bank_mask:0xf// 00000000753C: 06BABAFA FF0055B1
	v_mfma_f32_16x16x16_f16 v[216:219], v[126:127], v[168:169], v[216:219]// 000000007544: D3CD00D8 0763517E
	ds_write_b32 v20, v54 offset:19712                         // 00000000754C: D81A4D00 00003614
	ds_write_b32 v20, v55 offset:20256                         // 000000007554: D81A4F20 00003714
	v_mfma_f32_16x16x16_f16 v[220:223], v[128:129], v[168:169], v[220:223]// 00000000755C: D3CD00DC 07735180
	v_subrev_f32_dpp v94, v177, v94 quad_perm:[2,2,2,2] row_mask:0xf bank_mask:0xf// 000000007564: 06BCBCFA FF00AAB1
	v_subrev_f32_dpp v95, v177, v95 quad_perm:[3,3,3,3] row_mask:0xf bank_mask:0xf// 00000000756C: 06BEBEFA FF00FFB1
	v_subrev_f32_dpp v96, v177, v96 quad_perm:[0,0,0,0] row_mask:0xf bank_mask:0xf// 000000007574: 06C0C0FA FF0000B1
	v_subrev_f32_dpp v97, v177, v97 quad_perm:[1,1,1,1] row_mask:0xf bank_mask:0xf// 00000000757C: 06C2C2FA FF0055B1
	v_subrev_f32_dpp v98, v177, v98 quad_perm:[2,2,2,2] row_mask:0xf bank_mask:0xf// 000000007584: 06C4C4FA FF00AAB1
	v_subrev_f32_dpp v99, v177, v99 quad_perm:[3,3,3,3] row_mask:0xf bank_mask:0xf// 00000000758C: 06C6C6FA FF00FFB1
	v_mfma_f32_16x16x16_f16 v[224:227], v[130:131], v[168:169], v[224:227]// 000000007594: D3CD00E0 07835182
	ds_write_b32 v20, v56 offset:22016                         // 00000000759C: D81A5600 00003814
	ds_write_b32 v20, v57 offset:22560                         // 0000000075A4: D81A5820 00003914
	v_mfma_f32_16x16x16_f16 v[180:183], v[132:133], v[170:171], v[180:183]// 0000000075AC: D3CD00B4 06D35584
	v_mul_f32_e32 v88, v64, v88                                // 0000000075B4: 0AB0B140
	v_mul_f32_e32 v89, v65, v89                                // 0000000075B8: 0AB2B341
	v_mul_f32_e32 v90, v66, v90                                // 0000000075BC: 0AB4B542
	v_mul_f32_e32 v91, v67, v91                                // 0000000075C0: 0AB6B743
	v_mul_f32_e32 v92, v68, v92                                // 0000000075C4: 0AB8B944
	v_mul_f32_e32 v93, v69, v93                                // 0000000075C8: 0ABABB45
	v_mfma_f32_16x16x16_f16 v[184:187], v[134:135], v[170:171], v[184:187]// 0000000075CC: D3CD00B8 06E35586
	v_mul_f32_e32 v94, v70, v94                                // 0000000075D4: 0ABCBD46
	v_mul_f32_e32 v95, v71, v95                                // 0000000075D8: 0ABEBF47
	v_mul_f32_e32 v96, v72, v96                                // 0000000075DC: 0AC0C148
	v_mul_f32_e32 v97, v73, v97                                // 0000000075E0: 0AC2C349
	v_mul_f32_e32 v98, v74, v98                                // 0000000075E4: 0AC4C54A
	v_mul_f32_e32 v99, v75, v99                                // 0000000075E8: 0AC6C74B
	v_mfma_f32_16x16x16_f16 v[188:191], v[136:137], v[170:171], v[188:191]// 0000000075EC: D3CD00BC 06F35588
	v_cvt_pkrtz_f16_f32 v82, v88, v89                          // 0000000075F4: D2960052 0002B358
	v_cvt_pkrtz_f16_f32 v83, v90, v91                          // 0000000075FC: D2960053 0002B75A
	v_cvt_pkrtz_f16_f32 v84, v92, v93                          // 000000007604: D2960054 0002BB5C
	v_cvt_pkrtz_f16_f32 v85, v94, v95                          // 00000000760C: D2960055 0002BF5E
	v_cvt_pkrtz_f16_f32 v86, v96, v97                          // 000000007614: D2960056 0002C360
	v_cvt_pkrtz_f16_f32 v87, v98, v99                          // 00000000761C: D2960057 0002C762
	v_mfma_f32_16x16x16_f16 v[192:195], v[138:139], v[170:171], v[192:195]// 000000007624: D3CD00C0 0703558A
	v_mov_b32_dpp v18, v82 quad_perm:[1,0,3,2] row_mask:0xf bank_mask:0xf// 00000000762C: 7E2402FA FF00B152
	v_perm_b32 v58, v18, v82, v17                              // 000000007634: D1ED003A 0446A512
	v_mov_b32_dpp v18, v83 quad_perm:[1,0,3,2] row_mask:0xf bank_mask:0xf// 00000000763C: 7E2402FA FF00B153
	v_perm_b32 v59, v18, v83, v17                              // 000000007644: D1ED003B 0446A712
	v_mov_b32_dpp v18, v84 quad_perm:[1,0,3,2] row_mask:0xf bank_mask:0xf// 00000000764C: 7E2402FA FF00B154
	v_perm_b32 v60, v18, v84, v17                              // 000000007654: D1ED003C 0446A912
	v_mfma_f32_16x16x16_f16 v[196:199], v[132:133], v[172:173], v[196:199]// 00000000765C: D3CD00C4 07135984
	v_mov_b32_dpp v18, v85 quad_perm:[1,0,3,2] row_mask:0xf bank_mask:0xf// 000000007664: 7E2402FA FF00B155
	v_perm_b32 v61, v18, v85, v17                              // 00000000766C: D1ED003D 0446AB12
	v_mov_b32_dpp v18, v86 quad_perm:[1,0,3,2] row_mask:0xf bank_mask:0xf// 000000007674: 7E2402FA FF00B156
	v_perm_b32 v62, v18, v86, v17                              // 00000000767C: D1ED003E 0446AD12
	v_mov_b32_dpp v18, v87 quad_perm:[1,0,3,2] row_mask:0xf bank_mask:0xf// 000000007684: 7E2402FA FF00B157
	v_perm_b32 v63, v18, v87, v17                              // 00000000768C: D1ED003F 0446AF12
	v_mfma_f32_16x16x16_f16 v[200:203], v[134:135], v[172:173], v[200:203]// 000000007694: D3CD00C8 07235986
	ds_write_b32 v20, v58 offset:24320                         // 00000000769C: D81A5F00 00003A14
	ds_write_b32 v20, v59 offset:24864                         // 0000000076A4: D81A6120 00003B14
	v_mfma_f32_16x16x16_f16 v[204:207], v[136:137], v[172:173], v[204:207]// 0000000076AC: D3CD00CC 07335988
	v_mfma_f32_16x16x16_f16 v[208:211], v[138:139], v[172:173], v[208:211]// 0000000076B4: D3CD00D0 0743598A
	ds_write_b32 v20, v60 offset:26624                         // 0000000076BC: D81A6800 00003C14
	ds_write_b32 v20, v61 offset:27168                         // 0000000076C4: D81A6A20 00003D14
	ds_write_b32 v20, v62 offset:28928                         // 0000000076CC: D81A7100 00003E14
	ds_write_b32 v20, v63 offset:29472                         // 0000000076D4: D81A7320 00003F14
	v_mfma_f32_16x16x16_f16 v[212:215], v[132:133], v[174:175], v[212:215]// 0000000076DC: D3CD00D4 07535D84
	v_mfma_f32_16x16x16_f16 v[216:219], v[134:135], v[174:175], v[216:219]// 0000000076E4: D3CD00D8 07635D86
	ds_write_b32 v15, v100 offset:4352                         // 0000000076EC: D81A1100 0000640F
	ds_write_b32 v15, v101 offset:5408                         // 0000000076F4: D81A1520 0000650F
	v_mfma_f32_16x16x16_f16 v[220:223], v[136:137], v[174:175], v[220:223]// 0000000076FC: D3CD00DC 07735D88
	s_nop 0                                                    // 000000007704: BF800000
	s_nop 0                                                    // 000000007708: BF800000
	s_nop 0                                                    // 00000000770C: BF800000
	v_mfma_f32_16x16x16_f16 v[224:227], v[138:139], v[174:175], v[224:227]// 000000007710: D3CD00E0 07835D8A
	ds_write_b32 v15, v102 offset:6528                         // 000000007718: D81A1980 0000660F
	ds_write_b32 v15, v103 offset:7584                         // 000000007720: D81A1DA0 0000670F
	s_barrier                                                  // 000000007728: BF8A0000
	v_mfma_f32_16x16x16_f16 a[112:115], a[96:97], v[76:77], a[112:115]// 00000000772C: D3CD8070 0DC29960
	buffer_atomic_add_f32 v156, v6, s[32:35], 0 idxen          // 000000007734: E1342000 80089C06
	v_mfma_f32_16x16x16_f16 a[116:119], a[98:99], v[76:77], a[116:119]// 00000000773C: D3CD8074 0DD29962
	ds_read_b32 v140, v23 offset:39424                         // 000000007744: D86C9A00 8C000017
	ds_read_b32 v144, v23 offset:39488                         // 00000000774C: D86C9A40 90000017
	ds_read_b32 v176, v23 offset:39680                         // 000000007754: D86C9B00 B0000017
	ds_read_b32 v177, v23 offset:39744                         // 00000000775C: D86C9B40 B1000017
	v_mfma_f32_16x16x16_f16 a[120:123], a[100:101], v[76:77], a[120:123]// 000000007764: D3CD8078 0DE29964
	s_waitcnt lgkmcnt(8)                                       // 00000000776C: BF8CC87F
	s_barrier                                                  // 000000007770: BF8A0000
	v_mfma_f32_16x16x16_f16 a[124:127], a[102:103], v[76:77], a[124:127]// 000000007774: D3CD807C 0DF29966
	ds_read_b128 v[52:55], v19 offset:17408                    // 00000000777C: D9FE4400 34000013
	v_mfma_f32_16x16x16_f16 a[128:131], a[96:97], v[78:79], a[128:131]// 000000007784: D3CD8080 0E029D60
	v_mfma_f32_16x16x16_f16 a[132:135], a[98:99], v[78:79], a[132:135]// 00000000778C: D3CD8084 0E129D62
	ds_read_b128 v[56:59], v19 offset:18560                    // 000000007794: D9FE4880 38000013
	v_mfma_f32_16x16x16_f16 a[136:139], a[100:101], v[78:79], a[136:139]// 00000000779C: D3CD8088 0E229D64
	buffer_atomic_add_f32 v157, v7, s[32:35], 0 idxen          // 0000000077A4: E1342000 80089D07
	v_mfma_f32_16x16x16_f16 a[140:143], a[102:103], v[78:79], a[140:143]// 0000000077AC: D3CD808C 0E329D66
	ds_read_b128 v[60:63], v19 offset:19712                    // 0000000077B4: D9FE4D00 3C000013
	v_mfma_f32_16x16x16_f16 a[144:147], a[96:97], v[80:81], a[144:147]// 0000000077BC: D3CD8090 0E42A160
	v_mfma_f32_16x16x16_f16 a[148:151], a[98:99], v[80:81], a[148:151]// 0000000077C4: D3CD8094 0E52A162
	ds_read_b128 v[64:67], v19 offset:20864                    // 0000000077CC: D9FE5180 40000013
	v_mfma_f32_16x16x16_f16 a[152:155], a[100:101], v[80:81], a[152:155]// 0000000077D4: D3CD8098 0E62A164
	v_mfma_f32_16x16x16_f16 a[156:159], a[102:103], v[80:81], a[156:159]// 0000000077DC: D3CD809C 0E72A166
	ds_read_b128 v[68:71], v19 offset:22016                    // 0000000077E4: D9FE5600 44000013
	v_mfma_f32_16x16x16_f16 a[112:115], a[104:105], v[82:83], a[112:115]// 0000000077EC: D3CD8070 0DC2A568
	buffer_atomic_add_f32 v158, v6, s[32:35], 0 idxen offset:128// 0000000077F4: E1342080 80089E06
	v_mfma_f32_16x16x16_f16 a[116:119], a[106:107], v[82:83], a[116:119]// 0000000077FC: D3CD8074 0DD2A56A
	ds_read_b128 v[72:75], v19 offset:23168                    // 000000007804: D9FE5A80 48000013
	v_mfma_f32_16x16x16_f16 a[120:123], a[108:109], v[82:83], a[120:123]// 00000000780C: D3CD8078 0DE2A56C
	v_mfma_f32_16x16x16_f16 a[124:127], a[110:111], v[82:83], a[124:127]// 000000007814: D3CD807C 0DF2A56E
	ds_write_b32 v15, v104 offset:13056                        // 00000000781C: D81A3300 0000680F
	v_mfma_f32_16x16x16_f16 a[128:131], a[104:105], v[84:85], a[128:131]// 000000007824: D3CD8080 0E02A968
	v_mfma_f32_16x16x16_f16 a[132:135], a[106:107], v[84:85], a[132:135]// 00000000782C: D3CD8084 0E12A96A
	ds_write_b32 v15, v105 offset:14112                        // 000000007834: D81A3720 0000690F
	v_mfma_f32_16x16x16_f16 a[136:139], a[108:109], v[84:85], a[136:139]// 00000000783C: D3CD8088 0E22A96C
	buffer_atomic_add_f32 v159, v7, s[32:35], 0 idxen offset:128// 000000007844: E1342080 80089F07
	v_mfma_f32_16x16x16_f16 a[140:143], a[110:111], v[84:85], a[140:143]// 00000000784C: D3CD808C 0E32A96E
	ds_write_b32 v15, v106 offset:15232                        // 000000007854: D81A3B80 00006A0F
	v_mfma_f32_16x16x16_f16 a[144:147], a[104:105], v[86:87], a[144:147]// 00000000785C: D3CD8090 0E42AD68
	v_mfma_f32_16x16x16_f16 a[148:151], a[106:107], v[86:87], a[148:151]// 000000007864: D3CD8094 0E52AD6A
	ds_write_b32 v15, v107 offset:16288                        // 00000000786C: D81A3FA0 00006B0F
	v_mfma_f32_16x16x16_f16 a[152:155], a[108:109], v[86:87], a[152:155]// 000000007874: D3CD8098 0E62AD6C
	v_mfma_f32_16x16x16_f16 a[156:159], a[110:111], v[86:87], a[156:159]// 00000000787C: D3CD809C 0E72AD6E
	s_waitcnt vmcnt(8) lgkmcnt(4)                              // 000000007884: BF8C0478
	s_barrier                                                  // 000000007888: BF8A0000
	v_mfma_f32_16x16x16_f16 v[148:151], v[52:53], a[24:25], 0  // 00000000788C: D3CD0094 12023134
	v_mul_f32_e32 v140, s48, v140                              // 000000007894: 0B191830
	v_mul_f32_e32 v144, s48, v144                              // 000000007898: 0B212030
	s_nop 0                                                    // 00000000789C: BF800000
	v_mfma_f32_16x16x16_f16 v[148:151], v[54:55], a[28:29], v[148:151]// 0000000078A0: D3CD0094 16523936
	ds_read_b128 a[96:99], v12                                 // 0000000078A8: DBFE0000 6000000C
	buffer_load_dword v36, v1, s[8:11], 0 idxen                // 0000000078B0: E0502000 80022401
	v_mfma_f32_16x16x16_f16 v[148:151], v[56:57], a[32:33], v[148:151]// 0000000078B8: D3CD0094 16524138
	v_mfma_f32_16x16x16_f16 v[148:151], v[58:59], a[36:37], v[148:151]// 0000000078C0: D3CD0094 1652493A
	ds_read_b128 a[100:103], v12 offset:512                    // 0000000078C8: DBFE0200 6400000C
	buffer_load_dword v37, v2, s[8:11], 0 idxen                // 0000000078D0: E0502000 80022502
	v_mfma_f32_16x16x16_f16 v[148:151], v[60:61], a[40:41], v[148:151]// 0000000078D8: D3CD0094 1652513C
	v_perm_b32 v100, v41, v40, s63                             // 0000000078E0: D1ED0064 00FE5129
	v_perm_b32 v101, v41, v40, s64                             // 0000000078E8: D1ED0065 01025129
	v_mfma_f32_16x16x16_f16 v[148:151], v[62:63], a[44:45], v[148:151]// 0000000078F0: D3CD0094 1652593E
	ds_read_b128 a[104:107], v12 offset:2176                   // 0000000078F8: DBFE0880 6800000C
	buffer_load_dword v38, v3, s[8:11], 0 idxen                // 000000007900: E0502000 80022603
	v_mfma_f32_16x16x16_f16 v[148:151], v[64:65], a[48:49], v[148:151]// 000000007908: D3CD0094 16526140
	v_perm_b32 v102, v43, v42, s63                             // 000000007910: D1ED0066 00FE552B
	v_perm_b32 v103, v43, v42, s64                             // 000000007918: D1ED0067 0102552B
	v_mfma_f32_16x16x16_f16 v[148:151], v[66:67], a[52:53], v[148:151]// 000000007920: D3CD0094 16526942
	ds_read_b128 a[108:111], v12 offset:2688                   // 000000007928: DBFE0A80 6C00000C
	buffer_load_dword v39, v4, s[8:11], 0 idxen                // 000000007930: E0502000 80022704
	v_mfma_f32_16x16x16_f16 v[148:151], v[68:69], a[56:57], v[148:151]// 000000007938: D3CD0094 16527144
	v_perm_b32 v104, v49, v48, s63                             // 000000007940: D1ED0068 00FE6131
	v_perm_b32 v105, v49, v48, s64                             // 000000007948: D1ED0069 01026131
	v_mfma_f32_16x16x16_f16 v[148:151], v[70:71], a[60:61], v[148:151]// 000000007950: D3CD0094 16527946
	ds_read_b128 v[108:111], v12 offset:8704                   // 000000007958: D9FE2200 6C00000C
	buffer_load_dword v44, v228, s[20:23], 0 idxen             // 000000007960: E0502000 80052CE4
	v_mfma_f32_16x16x16_f16 v[148:151], v[72:73], a[64:65], v[148:151]// 000000007968: D3CD0094 16528148
	v_perm_b32 v106, v51, v50, s63                             // 000000007970: D1ED006A 00FE6533
	v_perm_b32 v107, v51, v50, s64                             // 000000007978: D1ED006B 01026533
	v_mfma_f32_16x16x16_f16 v[148:151], v[74:75], a[68:69], v[148:151]// 000000007980: D3CD0094 1652894A
	ds_read_b128 v[112:115], v12 offset:9216                   // 000000007988: D9FE2400 7000000C
	buffer_load_dword v45, v229, s[20:23], 0 idxen             // 000000007990: E0502000 80052DE5
	v_mfma_f32_16x16x16_f16 v[152:155], v[52:53], a[26:27], 0  // 000000007998: D3CD0098 12023534
	v_mov_b32_dpp v143, v140 quad_perm:[3,3,3,3] row_mask:0xf bank_mask:0xf// 0000000079A0: 7F1E02FA FF00FF8C
	v_mov_b32_dpp v142, v140 quad_perm:[2,2,2,2] row_mask:0xf bank_mask:0xf// 0000000079A8: 7F1C02FA FF00AA8C
	v_mov_b32_dpp v141, v140 quad_perm:[1,1,1,1] row_mask:0xf bank_mask:0xf// 0000000079B0: 7F1A02FA FF00558C
	v_mov_b32_dpp v140, v140 quad_perm:[0,0,0,0] row_mask:0xf bank_mask:0xf// 0000000079B8: 7F1802FA FF00008C
	v_mfma_f32_16x16x16_f16 v[152:155], v[54:55], a[30:31], v[152:155]// 0000000079C0: D3CD0098 16623D36
	ds_read_b128 v[116:119], v12 offset:10880                  // 0000000079C8: D9FE2A80 7400000C
	buffer_load_dword v46, v230, s[20:23], 0 idxen             // 0000000079D0: E0502000 80052EE6
	v_mfma_f32_16x16x16_f16 v[152:155], v[56:57], a[34:35], v[152:155]// 0000000079D8: D3CD0098 16624538
	v_mov_b32_dpp v147, v144 quad_perm:[3,3,3,3] row_mask:0xf bank_mask:0xf// 0000000079E0: 7F2602FA FF00FF90
	v_mov_b32_dpp v146, v144 quad_perm:[2,2,2,2] row_mask:0xf bank_mask:0xf// 0000000079E8: 7F2402FA FF00AA90
	v_mov_b32_dpp v145, v144 quad_perm:[1,1,1,1] row_mask:0xf bank_mask:0xf// 0000000079F0: 7F2202FA FF005590
	v_mov_b32_dpp v144, v144 quad_perm:[0,0,0,0] row_mask:0xf bank_mask:0xf// 0000000079F8: 7F2002FA FF000090
	s_add_u32 s60, 0x80, s59                                   // 000000007A00: 803C3BFF 00000080
	v_mfma_f32_16x16x16_f16 v[152:155], v[58:59], a[38:39], v[152:155]// 000000007A08: D3CD0098 16624D3A
	ds_read_b128 v[120:123], v12 offset:11392                  // 000000007A10: D9FE2C80 7800000C
	buffer_load_dword v47, v231, s[20:23], 0 idxen             // 000000007A18: E0502000 80052FE7
	v_mfma_f32_16x16x16_f16 v[152:155], v[60:61], a[42:43], v[152:155]// 000000007A20: D3CD0098 1662553C
	s_cmp_lt_u32 s60, s58                                      // 000000007A28: BF0A3A3C
	s_cselect_b32 s68, s68, 0                                  // 000000007A2C: 85448044
	s_cselect_b32 s100, s100, 0                                // 000000007A30: 85648064
	s_cselect_b32 s69, s69, 0                                  // 000000007A34: 85458045
	v_mfma_f32_16x16x16_f16 v[152:155], v[62:63], a[46:47], v[152:155]// 000000007A38: D3CD0098 16625D3E
	buffer_load_dword v11, s[24:27], 0 idxen lds               // 000000007A40: E0512000 8006000B
	v_mfma_f32_16x16x16_f16 v[152:155], v[64:65], a[50:51], v[152:155]// 000000007A48: D3CD0098 16626540
	v_add_u32_e32 v1, s68, v1                                  // 000000007A50: 68020244
	v_add_u32_e32 v2, s68, v2                                  // 000000007A54: 68040444
	v_add_u32_e32 v3, s68, v3                                  // 000000007A58: 68060644
	v_add_u32_e32 v4, s68, v4                                  // 000000007A5C: 68080844
	v_mfma_f32_16x16x16_f16 v[152:155], v[66:67], a[54:55], v[152:155]// 000000007A60: D3CD0098 16626D42
	v_add_u32_e32 v228, s100, v228                             // 000000007A68: 69C9C864
	v_add_u32_e32 v229, s100, v229                             // 000000007A6C: 69CBCA64
	v_add_u32_e32 v230, s100, v230                             // 000000007A70: 69CDCC64
	v_add_u32_e32 v231, s100, v231                             // 000000007A74: 69CFCE64
	v_mfma_f32_16x16x16_f16 v[152:155], v[68:69], a[58:59], v[152:155]// 000000007A78: D3CD0098 16627544
	s_mov_b32 m0, s79                                          // 000000007A80: BEFC004F
	v_add_u32_e32 v11, s69, v11                                // 000000007A84: 68161645
	v_mfma_f32_16x16x16_f16 v[152:155], v[70:71], a[62:63], v[152:155]// 000000007A88: D3CD0098 16627D46
	s_cmp_ge_u32 s59, s73                                      // 000000007A90: BF09493B
	s_cselect_b32 s66, s67, s66                                // 000000007A94: 85424243
	v_mfma_f32_16x16x16_f16 v[152:155], v[72:73], a[66:67], v[152:155]// 000000007A98: D3CD0098 16628548
	s_addk_i32 s59, 0x20                                       // 000000007AA0: B73B0020
	s_nop 0                                                    // 000000007AA4: BF800000
	s_cmp_lt_i32 s59, s58                                      // 000000007AA8: BF043A3B
	v_mfma_f32_16x16x16_f16 v[152:155], v[74:75], a[70:71], v[152:155]// 000000007AAC: D3CD0098 16628D4A
	s_cbranch_scc0 label_0EC1                                  // 000000007AB4: BF840001
	s_branch label_065A                                        // 000000007AB8: BF82F7AB

0000000000007abc <label_0EC1>:
	s_nop 0                                                    // 000000007ABC: BF800000
	s_nop 0                                                    // 000000007AC0: BF800000
	s_branch label_172B                                        // 000000007AC4: BF820855

0000000000007ac8 <label_0EC4>:
	s_waitcnt lgkmcnt(4)                                       // 000000007AC8: BF8CC47F
	s_barrier                                                  // 000000007ACC: BF8A0000
	v_mfma_f32_16x16x16_f16 v[52:55], a[96:97], a[0:1], 0      // 000000007AD0: D3CD0034 1A020160
	v_mul_f32_e32 v148, s47, v148                              // 000000007AD8: 0B29282F
	v_mul_f32_e32 v149, s47, v149                              // 000000007ADC: 0B2B2A2F
	v_mfma_f32_16x16x16_f16 v[52:55], a[98:99], a[2:3], v[52:55]// 000000007AE0: D3CD0034 1CD20562
	ds_write_b32 v13, v48 offset:8704                          // 000000007AE8: D81A2200 0000300D
	ds_write_b32 v13, v49 offset:9760                          // 000000007AF0: D81A2620 0000310D
	v_mfma_f32_16x16x16_f16 v[52:55], a[100:101], a[4:5], v[52:55]// 000000007AF8: D3CD0034 1CD20964
	v_mul_f32_e32 v150, s47, v150                              // 000000007B00: 0B2D2C2F
	v_mul_f32_e32 v151, s47, v151                              // 000000007B04: 0B2F2E2F
	v_mfma_f32_16x16x16_f16 v[52:55], a[102:103], a[6:7], v[52:55]// 000000007B08: D3CD0034 1CD20D66
	ds_write_b32 v13, v50 offset:10880                         // 000000007B10: D81A2A80 0000320D
	ds_write_b32 v13, v51 offset:11936                         // 000000007B18: D81A2EA0 0000330D
	v_mfma_f32_16x16x16_f16 v[56:59], a[96:97], a[8:9], 0      // 000000007B20: D3CD0038 1A021160
	v_mul_f32_e32 v152, s47, v152                              // 000000007B28: 0B31302F
	v_mul_f32_e32 v153, s47, v153                              // 000000007B2C: 0B33322F
	v_mfma_f32_16x16x16_f16 v[56:59], a[98:99], a[10:11], v[56:59]// 000000007B30: D3CD0038 1CE21562
	ds_write_b64 v22, v[148:149] offset:31232                  // 000000007B38: D89A7A00 00009416
	v_mfma_f32_16x16x16_f16 v[56:59], a[100:101], a[12:13], v[56:59]// 000000007B40: D3CD0038 1CE21964
	v_mul_f32_e32 v154, s47, v154                              // 000000007B48: 0B35342F
	v_mul_f32_e32 v155, s47, v155                              // 000000007B4C: 0B37362F
	v_mfma_f32_16x16x16_f16 v[56:59], a[102:103], a[14:15], v[56:59]// 000000007B50: D3CD0038 1CE21D66
	ds_write_b64 v22, v[150:151] offset:31744                  // 000000007B58: D89A7C00 00009616
	v_mfma_f32_16x16x16_f16 v[60:63], a[96:97], a[16:17], 0    // 000000007B60: D3CD003C 1A022160
	buffer_atomic_add_f32 v160, v8, s[32:35], 0 idxen          // 000000007B68: E1342000 8008A008
	v_mfma_f32_16x16x16_f16 v[60:63], a[98:99], a[18:19], v[60:63]// 000000007B70: D3CD003C 1CF22562
	ds_write_b64 v22, v[152:153] offset:32256                  // 000000007B78: D89A7E00 00009816
	v_mfma_f32_16x16x16_f16 v[60:63], a[100:101], a[20:21], v[60:63]// 000000007B80: D3CD003C 1CF22964
	v_mfma_f32_16x16x16_f16 v[60:63], a[102:103], a[22:23], v[60:63]// 000000007B88: D3CD003C 1CF22D66
	ds_write_b64 v22, v[154:155] offset:32768                  // 000000007B90: D89A8000 00009A16
	v_mfma_f32_16x16x16_f16 v[64:67], a[104:105], a[0:1], 0    // 000000007B98: D3CD0040 1A020168
	buffer_atomic_add_f32 v161, v9, s[32:35], 0 idxen          // 000000007BA0: E1342000 8008A109
	v_mfma_f32_16x16x16_f16 v[64:67], a[106:107], a[2:3], v[64:67]// 000000007BA8: D3CD0040 1D02056A
	ds_read_b128 v[124:127], v14 offset:13056                  // 000000007BB0: D9FE3300 7C00000E
	ds_write_b32 v13, v40                                      // 000000007BB8: D81A0000 0000280D
	v_mfma_f32_16x16x16_f16 v[64:67], a[108:109], a[4:5], v[64:67]// 000000007BC0: D3CD0040 1D02096C
	v_mfma_f32_16x16x16_f16 v[64:67], a[110:111], a[6:7], v[64:67]// 000000007BC8: D3CD0040 1D020D6E
	v_mfma_f32_16x16x16_f16 v[68:71], a[104:105], a[8:9], 0    // 000000007BD0: D3CD0044 1A021168
	ds_read_b128 v[128:131], v14 offset:13568                  // 000000007BD8: D9FE3500 8000000E
	ds_write_b32 v13, v41 offset:1056                          // 000000007BE0: D81A0420 0000290D
	v_mfma_f32_16x16x16_f16 v[68:71], a[106:107], a[10:11], v[68:71]// 000000007BE8: D3CD0044 1D12156A
	buffer_atomic_add_f32 v162, v8, s[32:35], 0 idxen offset:128// 000000007BF0: E1342080 8008A208
	v_mfma_f32_16x16x16_f16 v[68:71], a[108:109], a[12:13], v[68:71]// 000000007BF8: D3CD0044 1D12196C
	v_mfma_f32_16x16x16_f16 v[68:71], a[110:111], a[14:15], v[68:71]// 000000007C00: D3CD0044 1D121D6E
	ds_read_b128 v[132:135], v14 offset:15232                  // 000000007C08: D9FE3B80 8400000E
	ds_write_b32 v13, v42 offset:2176                          // 000000007C10: D81A0880 00002A0D
	v_mfma_f32_16x16x16_f16 v[72:75], a[104:105], a[16:17], 0  // 000000007C18: D3CD0048 1A022168
	v_mfma_f32_16x16x16_f16 v[72:75], a[106:107], a[18:19], v[72:75]// 000000007C20: D3CD0048 1D22256A
	buffer_atomic_add_f32 v163, v9, s[32:35], 0 idxen offset:128// 000000007C28: E1342080 8008A309
	v_mfma_f32_16x16x16_f16 v[72:75], a[108:109], a[20:21], v[72:75]// 000000007C30: D3CD0048 1D22296C
	ds_read_b128 v[136:139], v14 offset:15744                  // 000000007C38: D9FE3D80 8800000E
	ds_write_b32 v13, v43 offset:3232                          // 000000007C40: D81A0CA0 00002B0D
	v_mfma_f32_16x16x16_f16 v[72:75], a[110:111], a[22:23], v[72:75]// 000000007C48: D3CD0048 1D222D6E
	s_cmp_lt_i32 s74, 12                                       // 000000007C50: BF048C4A
	s_cbranch_scc0 label_100E                                  // 000000007C54: BF8400E6
	s_mov_b32 s60, 0xffe0fffe                                  // 000000007C58: BEBC00FF FFE0FFFE
	s_mov_b32 s61, 0xe000fe00                                  // 000000007C60: BEBD00FF E000FE00
	s_nop 0                                                    // 000000007C68: BF800000
	s_add_u32 s62, 0, s46                                      // 000000007C6C: 803E2E80
	s_cmp_lt_i32 s74, s62                                      // 000000007C70: BF043E4A
	s_cbranch_scc1 label_0F58                                  // 000000007C74: BF850028
	s_cmp_eq_i32 s74, s62                                      // 000000007C78: BF003E4A
	s_cbranch_scc1 label_0F3D                                  // 000000007C7C: BF85000B
	s_add_u32 s62, 4, s46                                      // 000000007C80: 803E2E84
	s_cmp_lt_i32 s74, s62                                      // 000000007C84: BF043E4A
	s_cbranch_scc1 label_0F78                                  // 000000007C88: BF850043
	s_cmp_eq_i32 s74, s62                                      // 000000007C8C: BF003E4A
	s_cbranch_scc1 label_0F5D                                  // 000000007C90: BF850026
	s_add_u32 s62, 8, s46                                      // 000000007C94: 803E2E88
	s_cmp_lt_i32 s74, s62                                      // 000000007C98: BF043E4A
	s_cbranch_scc1 label_0F98                                  // 000000007C9C: BF85005E
	s_cmp_eq_i32 s74, s62                                      // 000000007CA0: BF003E4A
	s_cbranch_scc1 label_0F7D                                  // 000000007CA4: BF850041
	s_branch label_0F9D                                        // 000000007CA8: BF820060

0000000000007cac <label_0F3D>:
	v_cndmask_b32_e64 v52, v52, v178, s[60:61]                 // 000000007CAC: D1000034 00F36534
	s_lshl_b32 s60, s60, 1                                     // 000000007CB4: 8E3C813C
	s_lshl_b32 s61, s61, 1                                     // 000000007CB8: 8E3D813D
	s_and_b32 s60, 0xfffeffff, s60                             // 000000007CBC: 863C3CFF FFFEFFFF
	s_and_b32 s61, 0xfffeffff, s61                             // 000000007CC4: 863D3DFF FFFEFFFF
	v_cndmask_b32_e64 v53, v53, v178, s[60:61]                 // 000000007CCC: D1000035 00F36535
	s_lshl_b32 s60, s60, 1                                     // 000000007CD4: 8E3C813C
	s_lshl_b32 s61, s61, 1                                     // 000000007CD8: 8E3D813D
	s_and_b32 s60, 0xfffeffff, s60                             // 000000007CDC: 863C3CFF FFFEFFFF
	s_and_b32 s61, 0xfffeffff, s61                             // 000000007CE4: 863D3DFF FFFEFFFF
	v_cndmask_b32_e64 v54, v54, v178, s[60:61]                 // 000000007CEC: D1000036 00F36536
	s_lshl_b32 s60, s60, 1                                     // 000000007CF4: 8E3C813C
	s_lshl_b32 s61, s61, 1                                     // 000000007CF8: 8E3D813D
	s_and_b32 s60, 0xfffeffff, s60                             // 000000007CFC: 863C3CFF FFFEFFFF
	s_and_b32 s61, 0xfffeffff, s61                             // 000000007D04: 863D3DFF FFFEFFFF
	v_cndmask_b32_e64 v55, v55, v178, s[60:61]                 // 000000007D0C: D1000037 00F36537
	s_branch label_0F78                                        // 000000007D14: BF820020

0000000000007d18 <label_0F58>:
	v_mov_b32_e32 v52, v178                                    // 000000007D18: 7E6803B2
	v_mov_b32_e32 v53, v178                                    // 000000007D1C: 7E6A03B2
	v_mov_b32_e32 v54, v178                                    // 000000007D20: 7E6C03B2
	v_mov_b32_e32 v55, v178                                    // 000000007D24: 7E6E03B2
	s_branch label_0F78                                        // 000000007D28: BF82001B

0000000000007d2c <label_0F5D>:
	v_cndmask_b32_e64 v56, v56, v178, s[60:61]                 // 000000007D2C: D1000038 00F36538
	s_lshl_b32 s60, s60, 1                                     // 000000007D34: 8E3C813C
	s_lshl_b32 s61, s61, 1                                     // 000000007D38: 8E3D813D
	s_and_b32 s60, 0xfffeffff, s60                             // 000000007D3C: 863C3CFF FFFEFFFF
	s_and_b32 s61, 0xfffeffff, s61                             // 000000007D44: 863D3DFF FFFEFFFF
	v_cndmask_b32_e64 v57, v57, v178, s[60:61]                 // 000000007D4C: D1000039 00F36539
	s_lshl_b32 s60, s60, 1                                     // 000000007D54: 8E3C813C
	s_lshl_b32 s61, s61, 1                                     // 000000007D58: 8E3D813D
	s_and_b32 s60, 0xfffeffff, s60                             // 000000007D5C: 863C3CFF FFFEFFFF
	s_and_b32 s61, 0xfffeffff, s61                             // 000000007D64: 863D3DFF FFFEFFFF
	v_cndmask_b32_e64 v58, v58, v178, s[60:61]                 // 000000007D6C: D100003A 00F3653A
	s_lshl_b32 s60, s60, 1                                     // 000000007D74: 8E3C813C
	s_lshl_b32 s61, s61, 1                                     // 000000007D78: 8E3D813D
	s_and_b32 s60, 0xfffeffff, s60                             // 000000007D7C: 863C3CFF FFFEFFFF
	s_and_b32 s61, 0xfffeffff, s61                             // 000000007D84: 863D3DFF FFFEFFFF
	v_cndmask_b32_e64 v59, v59, v178, s[60:61]                 // 000000007D8C: D100003B 00F3653B
	s_branch label_0F98                                        // 000000007D94: BF820020

0000000000007d98 <label_0F78>:
	v_mov_b32_e32 v56, v178                                    // 000000007D98: 7E7003B2
	v_mov_b32_e32 v57, v178                                    // 000000007D9C: 7E7203B2
	v_mov_b32_e32 v58, v178                                    // 000000007DA0: 7E7403B2
	v_mov_b32_e32 v59, v178                                    // 000000007DA4: 7E7603B2
	s_branch label_0F98                                        // 000000007DA8: BF82001B

0000000000007dac <label_0F7D>:
	v_cndmask_b32_e64 v60, v60, v178, s[60:61]                 // 000000007DAC: D100003C 00F3653C
	s_lshl_b32 s60, s60, 1                                     // 000000007DB4: 8E3C813C
	s_lshl_b32 s61, s61, 1                                     // 000000007DB8: 8E3D813D
	s_and_b32 s60, 0xfffeffff, s60                             // 000000007DBC: 863C3CFF FFFEFFFF
	s_and_b32 s61, 0xfffeffff, s61                             // 000000007DC4: 863D3DFF FFFEFFFF
	v_cndmask_b32_e64 v61, v61, v178, s[60:61]                 // 000000007DCC: D100003D 00F3653D
	s_lshl_b32 s60, s60, 1                                     // 000000007DD4: 8E3C813C
	s_lshl_b32 s61, s61, 1                                     // 000000007DD8: 8E3D813D
	s_and_b32 s60, 0xfffeffff, s60                             // 000000007DDC: 863C3CFF FFFEFFFF
	s_and_b32 s61, 0xfffeffff, s61                             // 000000007DE4: 863D3DFF FFFEFFFF
	v_cndmask_b32_e64 v62, v62, v178, s[60:61]                 // 000000007DEC: D100003E 00F3653E
	s_lshl_b32 s60, s60, 1                                     // 000000007DF4: 8E3C813C
	s_lshl_b32 s61, s61, 1                                     // 000000007DF8: 8E3D813D
	s_and_b32 s60, 0xfffeffff, s60                             // 000000007DFC: 863C3CFF FFFEFFFF
	s_and_b32 s61, 0xfffeffff, s61                             // 000000007E04: 863D3DFF FFFEFFFF
	v_cndmask_b32_e64 v63, v63, v178, s[60:61]                 // 000000007E0C: D100003F 00F3653F
	s_branch label_0F9D                                        // 000000007E14: BF820005

0000000000007e18 <label_0F98>:
	v_mov_b32_e32 v60, v178                                    // 000000007E18: 7E7803B2
	v_mov_b32_e32 v61, v178                                    // 000000007E1C: 7E7A03B2
	v_mov_b32_e32 v62, v178                                    // 000000007E20: 7E7C03B2
	v_mov_b32_e32 v63, v178                                    // 000000007E24: 7E7E03B2
	s_branch label_0F9D                                        // 000000007E28: BF820000

0000000000007e2c <label_0F9D>:
	s_addk_i32 s74, 0x1                                        // 000000007E2C: B74A0001
	s_add_u32 s62, 0, s46                                      // 000000007E30: 803E2E80
	s_cmp_lt_i32 s74, s62                                      // 000000007E34: BF043E4A
	s_cbranch_scc1 label_0FC9                                  // 000000007E38: BF850028
	s_cmp_eq_i32 s74, s62                                      // 000000007E3C: BF003E4A
	s_cbranch_scc1 label_0FAE                                  // 000000007E40: BF85000B
	s_add_u32 s62, 4, s46                                      // 000000007E44: 803E2E84
	s_cmp_lt_i32 s74, s62                                      // 000000007E48: BF043E4A
	s_cbranch_scc1 label_0FE9                                  // 000000007E4C: BF850043
	s_cmp_eq_i32 s74, s62                                      // 000000007E50: BF003E4A
	s_cbranch_scc1 label_0FCE                                  // 000000007E54: BF850026
	s_add_u32 s62, 8, s46                                      // 000000007E58: 803E2E88
	s_cmp_lt_i32 s74, s62                                      // 000000007E5C: BF043E4A
	s_cbranch_scc1 label_1009                                  // 000000007E60: BF85005E
	s_cmp_eq_i32 s74, s62                                      // 000000007E64: BF003E4A
	s_cbranch_scc1 label_0FEE                                  // 000000007E68: BF850041
	s_branch label_100E                                        // 000000007E6C: BF820060

0000000000007e70 <label_0FAE>:
	v_cndmask_b32_e64 v64, v64, v178, s[60:61]                 // 000000007E70: D1000040 00F36540
	s_lshl_b32 s60, s60, 1                                     // 000000007E78: 8E3C813C
	s_lshl_b32 s61, s61, 1                                     // 000000007E7C: 8E3D813D
	s_and_b32 s60, 0xfffeffff, s60                             // 000000007E80: 863C3CFF FFFEFFFF
	s_and_b32 s61, 0xfffeffff, s61                             // 000000007E88: 863D3DFF FFFEFFFF
	v_cndmask_b32_e64 v65, v65, v178, s[60:61]                 // 000000007E90: D1000041 00F36541
	s_lshl_b32 s60, s60, 1                                     // 000000007E98: 8E3C813C
	s_lshl_b32 s61, s61, 1                                     // 000000007E9C: 8E3D813D
	s_and_b32 s60, 0xfffeffff, s60                             // 000000007EA0: 863C3CFF FFFEFFFF
	s_and_b32 s61, 0xfffeffff, s61                             // 000000007EA8: 863D3DFF FFFEFFFF
	v_cndmask_b32_e64 v66, v66, v178, s[60:61]                 // 000000007EB0: D1000042 00F36542
	s_lshl_b32 s60, s60, 1                                     // 000000007EB8: 8E3C813C
	s_lshl_b32 s61, s61, 1                                     // 000000007EBC: 8E3D813D
	s_and_b32 s60, 0xfffeffff, s60                             // 000000007EC0: 863C3CFF FFFEFFFF
	s_and_b32 s61, 0xfffeffff, s61                             // 000000007EC8: 863D3DFF FFFEFFFF
	v_cndmask_b32_e64 v67, v67, v178, s[60:61]                 // 000000007ED0: D1000043 00F36543
	s_branch label_0FE9                                        // 000000007ED8: BF820020

0000000000007edc <label_0FC9>:
	v_mov_b32_e32 v64, v178                                    // 000000007EDC: 7E8003B2
	v_mov_b32_e32 v65, v178                                    // 000000007EE0: 7E8203B2
	v_mov_b32_e32 v66, v178                                    // 000000007EE4: 7E8403B2
	v_mov_b32_e32 v67, v178                                    // 000000007EE8: 7E8603B2
	s_branch label_0FE9                                        // 000000007EEC: BF82001B

0000000000007ef0 <label_0FCE>:
	v_cndmask_b32_e64 v68, v68, v178, s[60:61]                 // 000000007EF0: D1000044 00F36544
	s_lshl_b32 s60, s60, 1                                     // 000000007EF8: 8E3C813C
	s_lshl_b32 s61, s61, 1                                     // 000000007EFC: 8E3D813D
	s_and_b32 s60, 0xfffeffff, s60                             // 000000007F00: 863C3CFF FFFEFFFF
	s_and_b32 s61, 0xfffeffff, s61                             // 000000007F08: 863D3DFF FFFEFFFF
	v_cndmask_b32_e64 v69, v69, v178, s[60:61]                 // 000000007F10: D1000045 00F36545
	s_lshl_b32 s60, s60, 1                                     // 000000007F18: 8E3C813C
	s_lshl_b32 s61, s61, 1                                     // 000000007F1C: 8E3D813D
	s_and_b32 s60, 0xfffeffff, s60                             // 000000007F20: 863C3CFF FFFEFFFF
	s_and_b32 s61, 0xfffeffff, s61                             // 000000007F28: 863D3DFF FFFEFFFF
	v_cndmask_b32_e64 v70, v70, v178, s[60:61]                 // 000000007F30: D1000046 00F36546
	s_lshl_b32 s60, s60, 1                                     // 000000007F38: 8E3C813C
	s_lshl_b32 s61, s61, 1                                     // 000000007F3C: 8E3D813D
	s_and_b32 s60, 0xfffeffff, s60                             // 000000007F40: 863C3CFF FFFEFFFF
	s_and_b32 s61, 0xfffeffff, s61                             // 000000007F48: 863D3DFF FFFEFFFF
	v_cndmask_b32_e64 v71, v71, v178, s[60:61]                 // 000000007F50: D1000047 00F36547
	s_branch label_1009                                        // 000000007F58: BF820020

0000000000007f5c <label_0FE9>:
	v_mov_b32_e32 v68, v178                                    // 000000007F5C: 7E8803B2
	v_mov_b32_e32 v69, v178                                    // 000000007F60: 7E8A03B2
	v_mov_b32_e32 v70, v178                                    // 000000007F64: 7E8C03B2
	v_mov_b32_e32 v71, v178                                    // 000000007F68: 7E8E03B2
	s_branch label_1009                                        // 000000007F6C: BF82001B

0000000000007f70 <label_0FEE>:
	v_cndmask_b32_e64 v72, v72, v178, s[60:61]                 // 000000007F70: D1000048 00F36548
	s_lshl_b32 s60, s60, 1                                     // 000000007F78: 8E3C813C
	s_lshl_b32 s61, s61, 1                                     // 000000007F7C: 8E3D813D
	s_and_b32 s60, 0xfffeffff, s60                             // 000000007F80: 863C3CFF FFFEFFFF
	s_and_b32 s61, 0xfffeffff, s61                             // 000000007F88: 863D3DFF FFFEFFFF
	v_cndmask_b32_e64 v73, v73, v178, s[60:61]                 // 000000007F90: D1000049 00F36549
	s_lshl_b32 s60, s60, 1                                     // 000000007F98: 8E3C813C
	s_lshl_b32 s61, s61, 1                                     // 000000007F9C: 8E3D813D
	s_and_b32 s60, 0xfffeffff, s60                             // 000000007FA0: 863C3CFF FFFEFFFF
	s_and_b32 s61, 0xfffeffff, s61                             // 000000007FA8: 863D3DFF FFFEFFFF
	v_cndmask_b32_e64 v74, v74, v178, s[60:61]                 // 000000007FB0: D100004A 00F3654A
	s_lshl_b32 s60, s60, 1                                     // 000000007FB8: 8E3C813C
	s_lshl_b32 s61, s61, 1                                     // 000000007FBC: 8E3D813D
	s_and_b32 s60, 0xfffeffff, s60                             // 000000007FC0: 863C3CFF FFFEFFFF
	s_and_b32 s61, 0xfffeffff, s61                             // 000000007FC8: 863D3DFF FFFEFFFF
	v_cndmask_b32_e64 v75, v75, v178, s[60:61]                 // 000000007FD0: D100004B 00F3654B
	s_branch label_100E                                        // 000000007FD8: BF820005

0000000000007fdc <label_1009>:
	v_mov_b32_e32 v72, v178                                    // 000000007FDC: 7E9003B2
	v_mov_b32_e32 v73, v178                                    // 000000007FE0: 7E9203B2
	v_mov_b32_e32 v74, v178                                    // 000000007FE4: 7E9403B2
	v_mov_b32_e32 v75, v178                                    // 000000007FE8: 7E9603B2
	s_branch label_100E                                        // 000000007FEC: BF820000

0000000000007ff0 <label_100E>:
	s_cmp_lt_i32 s84, 0xc0                                     // 000000007FF0: BF04FF54 000000C0
	s_cbranch_scc0 label_1087                                  // 000000007FF8: BF84006D
	s_cmp_le_i32 s84, 64                                       // 000000007FFC: BF05C054
	s_cbranch_scc1 label_101A                                  // 000000008000: BF850007
	s_cmp_le_i32 s84, 0x80                                     // 000000008004: BF05FF54 00000080
	s_cbranch_scc1 label_103E                                  // 00000000800C: BF85001F
	s_cmp_lt_i32 s84, 0xc0                                     // 000000008010: BF04FF54 000000C0
	s_cbranch_scc1 label_1062                                  // 000000008018: BF850040
	s_branch label_1087                                        // 00000000801C: BF820064

0000000000008020 <label_101A>:
	s_mov_b32 s60, 0                                           // 000000008020: BEBC0080
	v_and_b32_e32 v32, 15, v0                                  // 000000008024: 2640008F
	v_add_u32_e64 v32, v32, s60                                // 000000008028: D1340020 00007920
	v_mul_i32_i24_e64 v33, s46, 16                             // 000000008030: D1060021 0001202E
	v_add_u32_e32 v32, v32, v33                                // 000000008038: 68404320
	v_cmp_lt_u32_e64 s[60:61], v32, s84                        // 00000000803C: D0C9003C 0000A920
	s_nop 1                                                    // 000000008044: BF800001
	v_cndmask_b32_e64 v52, v178, v52, s[60:61]                 // 000000008048: D1000034 00F269B2
	v_cndmask_b32_e64 v64, v178, v64, s[60:61]                 // 000000008050: D1000040 00F281B2
	v_cndmask_b32_e64 v53, v178, v53, s[60:61]                 // 000000008058: D1000035 00F26BB2
	v_cndmask_b32_e64 v65, v178, v65, s[60:61]                 // 000000008060: D1000041 00F283B2
	v_cndmask_b32_e64 v54, v178, v54, s[60:61]                 // 000000008068: D1000036 00F26DB2
	v_cndmask_b32_e64 v66, v178, v66, s[60:61]                 // 000000008070: D1000042 00F285B2
	v_cndmask_b32_e64 v55, v178, v55, s[60:61]                 // 000000008078: D1000037 00F26FB2
	v_cndmask_b32_e64 v67, v178, v67, s[60:61]                 // 000000008080: D1000043 00F287B2
	s_branch label_1059                                        // 000000008088: BF82001B

000000000000808c <label_103E>:
	s_mov_b32 s60, 64                                          // 00000000808C: BEBC00C0
	v_and_b32_e32 v32, 15, v0                                  // 000000008090: 2640008F
	v_add_u32_e64 v32, v32, s60                                // 000000008094: D1340020 00007920
	v_mul_i32_i24_e64 v33, s46, 16                             // 00000000809C: D1060021 0001202E
	v_add_u32_e32 v32, v32, v33                                // 0000000080A4: 68404320
	v_cmp_lt_u32_e64 s[60:61], v32, s84                        // 0000000080A8: D0C9003C 0000A920
	s_nop 1                                                    // 0000000080B0: BF800001
	v_cndmask_b32_e64 v56, v178, v56, s[60:61]                 // 0000000080B4: D1000038 00F271B2
	v_cndmask_b32_e64 v68, v178, v68, s[60:61]                 // 0000000080BC: D1000044 00F289B2
	v_cndmask_b32_e64 v57, v178, v57, s[60:61]                 // 0000000080C4: D1000039 00F273B2
	v_cndmask_b32_e64 v69, v178, v69, s[60:61]                 // 0000000080CC: D1000045 00F28BB2
	v_cndmask_b32_e64 v58, v178, v58, s[60:61]                 // 0000000080D4: D100003A 00F275B2
	v_cndmask_b32_e64 v70, v178, v70, s[60:61]                 // 0000000080DC: D1000046 00F28DB2
	v_cndmask_b32_e64 v59, v178, v59, s[60:61]                 // 0000000080E4: D100003B 00F277B2
	v_cndmask_b32_e64 v71, v178, v71, s[60:61]                 // 0000000080EC: D1000047 00F28FB2
	s_branch label_107E                                        // 0000000080F4: BF820025

00000000000080f8 <label_1059>:
	v_mov_b32_e32 v56, v178                                    // 0000000080F8: 7E7003B2
	v_mov_b32_e32 v68, v178                                    // 0000000080FC: 7E8803B2
	v_mov_b32_e32 v57, v178                                    // 000000008100: 7E7203B2
	v_mov_b32_e32 v69, v178                                    // 000000008104: 7E8A03B2
	v_mov_b32_e32 v58, v178                                    // 000000008108: 7E7403B2
	v_mov_b32_e32 v70, v178                                    // 00000000810C: 7E8C03B2
	v_mov_b32_e32 v59, v178                                    // 000000008110: 7E7603B2
	v_mov_b32_e32 v71, v178                                    // 000000008114: 7E8E03B2
	s_branch label_107E                                        // 000000008118: BF82001C

000000000000811c <label_1062>:
	s_mov_b32 s60, 0x80                                        // 00000000811C: BEBC00FF 00000080
	v_and_b32_e32 v32, 15, v0                                  // 000000008124: 2640008F
	v_add_u32_e64 v32, v32, s60                                // 000000008128: D1340020 00007920
	v_mul_i32_i24_e64 v33, s46, 16                             // 000000008130: D1060021 0001202E
	v_add_u32_e32 v32, v32, v33                                // 000000008138: 68404320
	v_cmp_lt_u32_e64 s[60:61], v32, s84                        // 00000000813C: D0C9003C 0000A920
	s_nop 1                                                    // 000000008144: BF800001
	v_cndmask_b32_e64 v60, v178, v60, s[60:61]                 // 000000008148: D100003C 00F279B2
	v_cndmask_b32_e64 v72, v178, v72, s[60:61]                 // 000000008150: D1000048 00F291B2
	v_cndmask_b32_e64 v61, v178, v61, s[60:61]                 // 000000008158: D100003D 00F27BB2
	v_cndmask_b32_e64 v73, v178, v73, s[60:61]                 // 000000008160: D1000049 00F293B2
	v_cndmask_b32_e64 v62, v178, v62, s[60:61]                 // 000000008168: D100003E 00F27DB2
	v_cndmask_b32_e64 v74, v178, v74, s[60:61]                 // 000000008170: D100004A 00F295B2
	v_cndmask_b32_e64 v63, v178, v63, s[60:61]                 // 000000008178: D100003F 00F27FB2
	v_cndmask_b32_e64 v75, v178, v75, s[60:61]                 // 000000008180: D100004B 00F297B2
	s_branch label_1087                                        // 000000008188: BF820009

000000000000818c <label_107E>:
	v_mov_b32_e32 v60, v178                                    // 00000000818C: 7E7803B2
	v_mov_b32_e32 v72, v178                                    // 000000008190: 7E9003B2
	v_mov_b32_e32 v61, v178                                    // 000000008194: 7E7A03B2
	v_mov_b32_e32 v73, v178                                    // 000000008198: 7E9203B2
	v_mov_b32_e32 v62, v178                                    // 00000000819C: 7E7C03B2
	v_mov_b32_e32 v74, v178                                    // 0000000081A0: 7E9403B2
	v_mov_b32_e32 v63, v178                                    // 0000000081A4: 7E7E03B2
	v_mov_b32_e32 v75, v178                                    // 0000000081A8: 7E9603B2
	s_branch label_1087                                        // 0000000081AC: BF820000

00000000000081b0 <label_1087>:
	s_addk_i32 s74, 0x1                                        // 0000000081B0: B74A0001
	s_waitcnt lgkmcnt(8)                                       // 0000000081B4: BF8CC87F
	s_barrier                                                  // 0000000081B8: BF8A0000
	v_mfma_f32_16x16x16_f16 v[76:79], v[108:109], a[72:73], 0  // 0000000081BC: D3CD004C 1202916C
	v_fma_f32 v52, v52, s57, -v140                             // 0000000081C4: D1CB0034 86307334
	v_fma_f32 v53, v53, s57, -v141                             // 0000000081CC: D1CB0035 86347335
	v_fma_f32 v54, v54, s57, -v142                             // 0000000081D4: D1CB0036 86387336
	v_fma_f32 v55, v55, s57, -v143                             // 0000000081DC: D1CB0037 863C7337
	v_fma_f32 v56, v56, s57, -v140                             // 0000000081E4: D1CB0038 86307338
	v_fma_f32 v57, v57, s57, -v141                             // 0000000081EC: D1CB0039 86347339
	v_mfma_f32_16x16x16_f16 v[76:79], v[110:111], a[74:75], v[76:79]// 0000000081F4: D3CD004C 1532956E
	ds_read_b128 a[96:99], v14 offset:4352                     // 0000000081FC: DBFE1100 6000000E
	ds_read_b128 a[100:103], v14 offset:4864                   // 000000008204: DBFE1300 6400000E
	v_mfma_f32_16x16x16_f16 v[76:79], v[112:113], a[76:77], v[76:79]// 00000000820C: D3CD004C 15329970
	v_fma_f32 v58, v58, s57, -v142                             // 000000008214: D1CB003A 8638733A
	v_fma_f32 v59, v59, s57, -v143                             // 00000000821C: D1CB003B 863C733B
	v_fma_f32 v60, v60, s57, -v140                             // 000000008224: D1CB003C 8630733C
	v_fma_f32 v61, v61, s57, -v141                             // 00000000822C: D1CB003D 8634733D
	v_fma_f32 v62, v62, s57, -v142                             // 000000008234: D1CB003E 8638733E
	v_fma_f32 v63, v63, s57, -v143                             // 00000000823C: D1CB003F 863C733F
	v_mfma_f32_16x16x16_f16 v[76:79], v[114:115], a[78:79], v[76:79]// 000000008244: D3CD004C 15329D72
	v_fma_f32 v64, v64, s57, -v144                             // 00000000824C: D1CB0040 86407340
	v_fma_f32 v65, v65, s57, -v145                             // 000000008254: D1CB0041 86447341
	v_fma_f32 v66, v66, s57, -v146                             // 00000000825C: D1CB0042 86487342
	v_fma_f32 v67, v67, s57, -v147                             // 000000008264: D1CB0043 864C7343
	v_fma_f32 v68, v68, s57, -v144                             // 00000000826C: D1CB0044 86407344
	v_fma_f32 v69, v69, s57, -v145                             // 000000008274: D1CB0045 86447345
	v_mfma_f32_16x16x16_f16 v[80:83], v[108:109], a[80:81], 0  // 00000000827C: D3CD0050 1202A16C
	v_fma_f32 v70, v70, s57, -v146                             // 000000008284: D1CB0046 86487346
	v_fma_f32 v71, v71, s57, -v147                             // 00000000828C: D1CB0047 864C7347
	v_fma_f32 v72, v72, s57, -v144                             // 000000008294: D1CB0048 86407348
	v_fma_f32 v73, v73, s57, -v145                             // 00000000829C: D1CB0049 86447349
	v_fma_f32 v74, v74, s57, -v146                             // 0000000082A4: D1CB004A 8648734A
	v_fma_f32 v75, v75, s57, -v147                             // 0000000082AC: D1CB004B 864C734B
	v_mfma_f32_16x16x16_f16 v[80:83], v[110:111], a[82:83], v[80:83]// 0000000082B4: D3CD0050 1542A56E
	ds_read_b128 a[104:107], v14 offset:6528                   // 0000000082BC: DBFE1980 6800000E
	ds_read_b128 a[108:111], v14 offset:7040                   // 0000000082C4: DBFE1B80 6C00000E
	v_mfma_f32_16x16x16_f16 v[80:83], v[112:113], a[84:85], v[80:83]// 0000000082CC: D3CD0050 1542A970
	v_exp_f32_e32 v52, v52                                     // 0000000082D4: 7E684134
	v_exp_f32_e32 v53, v53                                     // 0000000082D8: 7E6A4135
	v_mfma_f32_16x16x16_f16 v[80:83], v[114:115], a[86:87], v[80:83]// 0000000082DC: D3CD0050 1542AD72
	v_exp_f32_e32 v54, v54                                     // 0000000082E4: 7E6C4136
	v_exp_f32_e32 v55, v55                                     // 0000000082E8: 7E6E4137
	v_mfma_f32_16x16x16_f16 v[84:87], v[108:109], a[88:89], 0  // 0000000082EC: D3CD0054 1202B16C
	v_exp_f32_e32 v56, v56                                     // 0000000082F4: 7E704138
	v_exp_f32_e32 v57, v57                                     // 0000000082F8: 7E724139
	v_mfma_f32_16x16x16_f16 v[84:87], v[110:111], a[90:91], v[84:87]// 0000000082FC: D3CD0054 1552B56E
	ds_read_b64 v[156:157], v21 offset:31232                   // 000000008304: D8EC7A00 9C000015
	ds_read_b64 v[158:159], v21 offset:33280                   // 00000000830C: D8EC8200 9E000015
	v_mfma_f32_16x16x16_f16 v[84:87], v[112:113], a[92:93], v[84:87]// 000000008314: D3CD0054 1552B970
	v_exp_f32_e32 v58, v58                                     // 00000000831C: 7E74413A
	v_exp_f32_e32 v59, v59                                     // 000000008320: 7E76413B
	v_mfma_f32_16x16x16_f16 v[84:87], v[114:115], a[94:95], v[84:87]// 000000008324: D3CD0054 1552BD72
	ds_read_b64 v[160:161], v21 offset:35328                   // 00000000832C: D8EC8A00 A0000015
	ds_read_b64 v[162:163], v21 offset:37376                   // 000000008334: D8EC9200 A2000015
	v_mfma_f32_16x16x16_f16 v[88:91], v[116:117], a[72:73], 0  // 00000000833C: D3CD0058 12029174
	v_exp_f32_e32 v60, v60                                     // 000000008344: 7E78413C
	v_exp_f32_e32 v61, v61                                     // 000000008348: 7E7A413D
	v_mfma_f32_16x16x16_f16 v[88:91], v[118:119], a[74:75], v[88:91]// 00000000834C: D3CD0058 15629576
	v_exp_f32_e32 v62, v62                                     // 000000008354: 7E7C413E
	v_exp_f32_e32 v63, v63                                     // 000000008358: 7E7E413F
	v_mfma_f32_16x16x16_f16 v[88:91], v[120:121], a[76:77], v[88:91]// 00000000835C: D3CD0058 15629978
	v_exp_f32_e32 v64, v64                                     // 000000008364: 7E804140
	v_exp_f32_e32 v65, v65                                     // 000000008368: 7E824141
	v_mfma_f32_16x16x16_f16 v[88:91], v[122:123], a[78:79], v[88:91]// 00000000836C: D3CD0058 15629D7A
	v_exp_f32_e32 v66, v66                                     // 000000008374: 7E844142
	v_exp_f32_e32 v67, v67                                     // 000000008378: 7E864143
	v_mfma_f32_16x16x16_f16 v[92:95], v[116:117], a[80:81], 0  // 00000000837C: D3CD005C 1202A174
	v_exp_f32_e32 v68, v68                                     // 000000008384: 7E884144
	v_exp_f32_e32 v69, v69                                     // 000000008388: 7E8A4145
	v_mfma_f32_16x16x16_f16 v[92:95], v[118:119], a[82:83], v[92:95]// 00000000838C: D3CD005C 1572A576
	v_exp_f32_e32 v70, v70                                     // 000000008394: 7E8C4146
	v_exp_f32_e32 v71, v71                                     // 000000008398: 7E8E4147
	v_mfma_f32_16x16x16_f16 v[92:95], v[120:121], a[84:85], v[92:95]// 00000000839C: D3CD005C 1572A978
	v_exp_f32_e32 v72, v72                                     // 0000000083A4: 7E904148
	v_exp_f32_e32 v73, v73                                     // 0000000083A8: 7E924149
	v_mfma_f32_16x16x16_f16 v[92:95], v[122:123], a[86:87], v[92:95]// 0000000083AC: D3CD005C 1572AD7A
	v_exp_f32_e32 v74, v74                                     // 0000000083B4: 7E94414A
	v_exp_f32_e32 v75, v75                                     // 0000000083B8: 7E96414B
	v_mfma_f32_16x16x16_f16 v[96:99], v[116:117], a[88:89], 0  // 0000000083BC: D3CD0060 1202B174
	v_cvt_pkrtz_f16_f32 v164, v52, v53                         // 0000000083C4: D29600A4 00026B34
	v_cvt_pkrtz_f16_f32 v165, v54, v55                         // 0000000083CC: D29600A5 00026F36
	v_cvt_pkrtz_f16_f32 v166, v56, v57                         // 0000000083D4: D29600A6 00027338
	v_cvt_pkrtz_f16_f32 v167, v58, v59                         // 0000000083DC: D29600A7 0002773A
	v_cvt_pkrtz_f16_f32 v168, v60, v61                         // 0000000083E4: D29600A8 00027B3C
	v_cvt_pkrtz_f16_f32 v169, v62, v63                         // 0000000083EC: D29600A9 00027F3E
	v_mfma_f32_16x16x16_f16 v[96:99], v[118:119], a[90:91], v[96:99]// 0000000083F4: D3CD0060 1582B576
	v_cvt_pkrtz_f16_f32 v170, v64, v65                         // 0000000083FC: D29600AA 00028340
	v_cvt_pkrtz_f16_f32 v171, v66, v67                         // 000000008404: D29600AB 00028742
	v_cvt_pkrtz_f16_f32 v172, v68, v69                         // 00000000840C: D29600AC 00028B44
	v_cvt_pkrtz_f16_f32 v173, v70, v71                         // 000000008414: D29600AD 00028F46
	v_cvt_pkrtz_f16_f32 v174, v72, v73                         // 00000000841C: D29600AE 00029348
	v_cvt_pkrtz_f16_f32 v175, v74, v75                         // 000000008424: D29600AF 0002974A
	v_mfma_f32_16x16x16_f16 v[96:99], v[120:121], a[92:93], v[96:99]// 00000000842C: D3CD0060 1582B978
	v_add_u32_e32 v6, s66, v6                                  // 000000008434: 680C0C42
	v_add_u32_e32 v7, s66, v7                                  // 000000008438: 680E0E42
	v_add_u32_e32 v8, s66, v8                                  // 00000000843C: 68101042
	v_add_u32_e32 v9, s66, v9                                  // 000000008440: 68121242
	v_mfma_f32_16x16x16_f16 v[96:99], v[122:123], a[94:95], v[96:99]// 000000008444: D3CD0060 1582BD7A
	s_waitcnt lgkmcnt(0)                                       // 00000000844C: BF8CC07F
	s_barrier                                                  // 000000008450: BF8A0000
	v_mfma_f32_16x16x16_f16 v[180:183], v[124:125], v[164:165], v[180:183]// 000000008454: D3CD00B4 06D3497C
	v_subrev_f32_dpp v76, v176, v76 quad_perm:[0,0,0,0] row_mask:0xf bank_mask:0xf// 00000000845C: 069898FA FF0000B0
	v_subrev_f32_dpp v77, v176, v77 quad_perm:[1,1,1,1] row_mask:0xf bank_mask:0xf// 000000008464: 069A9AFA FF0055B0
	v_subrev_f32_dpp v78, v176, v78 quad_perm:[2,2,2,2] row_mask:0xf bank_mask:0xf// 00000000846C: 069C9CFA FF00AAB0
	v_subrev_f32_dpp v79, v176, v79 quad_perm:[3,3,3,3] row_mask:0xf bank_mask:0xf// 000000008474: 069E9EFA FF00FFB0
	v_subrev_f32_dpp v80, v176, v80 quad_perm:[0,0,0,0] row_mask:0xf bank_mask:0xf// 00000000847C: 06A0A0FA FF0000B0
	v_subrev_f32_dpp v81, v176, v81 quad_perm:[1,1,1,1] row_mask:0xf bank_mask:0xf// 000000008484: 06A2A2FA FF0055B0
	v_mfma_f32_16x16x16_f16 v[184:187], v[126:127], v[164:165], v[184:187]// 00000000848C: D3CD00B8 06E3497E
	v_subrev_f32_dpp v82, v176, v82 quad_perm:[2,2,2,2] row_mask:0xf bank_mask:0xf// 000000008494: 06A4A4FA FF00AAB0
	v_subrev_f32_dpp v83, v176, v83 quad_perm:[3,3,3,3] row_mask:0xf bank_mask:0xf// 00000000849C: 06A6A6FA FF00FFB0
	v_subrev_f32_dpp v84, v176, v84 quad_perm:[0,0,0,0] row_mask:0xf bank_mask:0xf// 0000000084A4: 06A8A8FA FF0000B0
	v_subrev_f32_dpp v85, v176, v85 quad_perm:[1,1,1,1] row_mask:0xf bank_mask:0xf// 0000000084AC: 06AAAAFA FF0055B0
	v_subrev_f32_dpp v86, v176, v86 quad_perm:[2,2,2,2] row_mask:0xf bank_mask:0xf// 0000000084B4: 06ACACFA FF00AAB0
	v_subrev_f32_dpp v87, v176, v87 quad_perm:[3,3,3,3] row_mask:0xf bank_mask:0xf// 0000000084BC: 06AEAEFA FF00FFB0
	v_mfma_f32_16x16x16_f16 v[188:191], v[128:129], v[164:165], v[188:191]// 0000000084C4: D3CD00BC 06F34980
	v_mul_f32_e32 v76, v52, v76                                // 0000000084CC: 0A989934
	v_mul_f32_e32 v77, v53, v77                                // 0000000084D0: 0A9A9B35
	v_mul_f32_e32 v78, v54, v78                                // 0000000084D4: 0A9C9D36
	v_mul_f32_e32 v79, v55, v79                                // 0000000084D8: 0A9E9F37
	v_mul_f32_e32 v80, v56, v80                                // 0000000084DC: 0AA0A138
	v_mul_f32_e32 v81, v57, v81                                // 0000000084E0: 0AA2A339
	v_mfma_f32_16x16x16_f16 v[192:195], v[130:131], v[164:165], v[192:195]// 0000000084E4: D3CD00C0 07034982
	v_mul_f32_e32 v82, v58, v82                                // 0000000084EC: 0AA4A53A
	v_mul_f32_e32 v83, v59, v83                                // 0000000084F0: 0AA6A73B
	v_mul_f32_e32 v84, v60, v84                                // 0000000084F4: 0AA8A93C
	v_mul_f32_e32 v85, v61, v85                                // 0000000084F8: 0AAAAB3D
	v_mul_f32_e32 v86, v62, v86                                // 0000000084FC: 0AACAD3E
	v_mul_f32_e32 v87, v63, v87                                // 000000008500: 0AAEAF3F
	v_mfma_f32_16x16x16_f16 v[196:199], v[124:125], v[166:167], v[196:199]// 000000008504: D3CD00C4 07134D7C
	v_cvt_pkrtz_f16_f32 v76, v76, v77                          // 00000000850C: D296004C 00029B4C
	v_cvt_pkrtz_f16_f32 v77, v78, v79                          // 000000008514: D296004D 00029F4E
	v_cvt_pkrtz_f16_f32 v78, v80, v81                          // 00000000851C: D296004E 0002A350
	v_cvt_pkrtz_f16_f32 v79, v82, v83                          // 000000008524: D296004F 0002A752
	v_cvt_pkrtz_f16_f32 v80, v84, v85                          // 00000000852C: D2960050 0002AB54
	v_cvt_pkrtz_f16_f32 v81, v86, v87                          // 000000008534: D2960051 0002AF56
	v_mfma_f32_16x16x16_f16 v[200:203], v[126:127], v[166:167], v[200:203]// 00000000853C: D3CD00C8 07234D7E
	v_mov_b32_dpp v18, v76 quad_perm:[1,0,3,2] row_mask:0xf bank_mask:0xf// 000000008544: 7E2402FA FF00B14C
	v_perm_b32 v52, v18, v76, v17                              // 00000000854C: D1ED0034 04469912
	v_mov_b32_dpp v18, v77 quad_perm:[1,0,3,2] row_mask:0xf bank_mask:0xf// 000000008554: 7E2402FA FF00B14D
	v_perm_b32 v53, v18, v77, v17                              // 00000000855C: D1ED0035 04469B12
	v_mov_b32_dpp v18, v78 quad_perm:[1,0,3,2] row_mask:0xf bank_mask:0xf// 000000008564: 7E2402FA FF00B14E
	v_perm_b32 v54, v18, v78, v17                              // 00000000856C: D1ED0036 04469D12
	v_mfma_f32_16x16x16_f16 v[204:207], v[128:129], v[166:167], v[204:207]// 000000008574: D3CD00CC 07334D80
	ds_write_b32 v20, v52 offset:17408                         // 00000000857C: D81A4400 00003414
	ds_write_b32 v20, v53 offset:17952                         // 000000008584: D81A4620 00003514
	v_mfma_f32_16x16x16_f16 v[208:211], v[130:131], v[166:167], v[208:211]// 00000000858C: D3CD00D0 07434D82
	v_mov_b32_dpp v18, v79 quad_perm:[1,0,3,2] row_mask:0xf bank_mask:0xf// 000000008594: 7E2402FA FF00B14F
	v_perm_b32 v55, v18, v79, v17                              // 00000000859C: D1ED0037 04469F12
	v_mov_b32_dpp v18, v80 quad_perm:[1,0,3,2] row_mask:0xf bank_mask:0xf// 0000000085A4: 7E2402FA FF00B150
	v_perm_b32 v56, v18, v80, v17                              // 0000000085AC: D1ED0038 0446A112
	v_mov_b32_dpp v18, v81 quad_perm:[1,0,3,2] row_mask:0xf bank_mask:0xf// 0000000085B4: 7E2402FA FF00B151
	v_perm_b32 v57, v18, v81, v17                              // 0000000085BC: D1ED0039 0446A312
	v_mfma_f32_16x16x16_f16 v[212:215], v[124:125], v[168:169], v[212:215]// 0000000085C4: D3CD00D4 0753517C
	ds_write_b32 v20, v54 offset:19712                         // 0000000085CC: D81A4D00 00003614
	ds_write_b32 v20, v55 offset:20256                         // 0000000085D4: D81A4F20 00003714
	v_mfma_f32_16x16x16_f16 v[216:219], v[126:127], v[168:169], v[216:219]// 0000000085DC: D3CD00D8 0763517E
	v_subrev_f32_dpp v88, v177, v88 quad_perm:[0,0,0,0] row_mask:0xf bank_mask:0xf// 0000000085E4: 06B0B0FA FF0000B1
	v_subrev_f32_dpp v89, v177, v89 quad_perm:[1,1,1,1] row_mask:0xf bank_mask:0xf// 0000000085EC: 06B2B2FA FF0055B1
	v_subrev_f32_dpp v90, v177, v90 quad_perm:[2,2,2,2] row_mask:0xf bank_mask:0xf// 0000000085F4: 06B4B4FA FF00AAB1
	v_subrev_f32_dpp v91, v177, v91 quad_perm:[3,3,3,3] row_mask:0xf bank_mask:0xf// 0000000085FC: 06B6B6FA FF00FFB1
	v_subrev_f32_dpp v92, v177, v92 quad_perm:[0,0,0,0] row_mask:0xf bank_mask:0xf// 000000008604: 06B8B8FA FF0000B1
	v_subrev_f32_dpp v93, v177, v93 quad_perm:[1,1,1,1] row_mask:0xf bank_mask:0xf// 00000000860C: 06BABAFA FF0055B1
	v_mfma_f32_16x16x16_f16 v[220:223], v[128:129], v[168:169], v[220:223]// 000000008614: D3CD00DC 07735180
	ds_write_b32 v20, v56 offset:22016                         // 00000000861C: D81A5600 00003814
	ds_write_b32 v20, v57 offset:22560                         // 000000008624: D81A5820 00003914
	v_mfma_f32_16x16x16_f16 v[224:227], v[130:131], v[168:169], v[224:227]// 00000000862C: D3CD00E0 07835182
	v_subrev_f32_dpp v94, v177, v94 quad_perm:[2,2,2,2] row_mask:0xf bank_mask:0xf// 000000008634: 06BCBCFA FF00AAB1
	v_subrev_f32_dpp v95, v177, v95 quad_perm:[3,3,3,3] row_mask:0xf bank_mask:0xf// 00000000863C: 06BEBEFA FF00FFB1
	v_subrev_f32_dpp v96, v177, v96 quad_perm:[0,0,0,0] row_mask:0xf bank_mask:0xf// 000000008644: 06C0C0FA FF0000B1
	v_subrev_f32_dpp v97, v177, v97 quad_perm:[1,1,1,1] row_mask:0xf bank_mask:0xf// 00000000864C: 06C2C2FA FF0055B1
	v_subrev_f32_dpp v98, v177, v98 quad_perm:[2,2,2,2] row_mask:0xf bank_mask:0xf// 000000008654: 06C4C4FA FF00AAB1
	v_subrev_f32_dpp v99, v177, v99 quad_perm:[3,3,3,3] row_mask:0xf bank_mask:0xf// 00000000865C: 06C6C6FA FF00FFB1
	v_mfma_f32_16x16x16_f16 v[180:183], v[132:133], v[170:171], v[180:183]// 000000008664: D3CD00B4 06D35584
	v_mul_f32_e32 v88, v64, v88                                // 00000000866C: 0AB0B140
	v_mul_f32_e32 v89, v65, v89                                // 000000008670: 0AB2B341
	v_mul_f32_e32 v90, v66, v90                                // 000000008674: 0AB4B542
	v_mul_f32_e32 v91, v67, v91                                // 000000008678: 0AB6B743
	v_mul_f32_e32 v92, v68, v92                                // 00000000867C: 0AB8B944
	v_mul_f32_e32 v93, v69, v93                                // 000000008680: 0ABABB45
	v_mfma_f32_16x16x16_f16 v[184:187], v[134:135], v[170:171], v[184:187]// 000000008684: D3CD00B8 06E35586
	v_mul_f32_e32 v94, v70, v94                                // 00000000868C: 0ABCBD46
	v_mul_f32_e32 v95, v71, v95                                // 000000008690: 0ABEBF47
	v_mul_f32_e32 v96, v72, v96                                // 000000008694: 0AC0C148
	v_mul_f32_e32 v97, v73, v97                                // 000000008698: 0AC2C349
	v_mul_f32_e32 v98, v74, v98                                // 00000000869C: 0AC4C54A
	v_mul_f32_e32 v99, v75, v99                                // 0000000086A0: 0AC6C74B
	v_mfma_f32_16x16x16_f16 v[188:191], v[136:137], v[170:171], v[188:191]// 0000000086A4: D3CD00BC 06F35588
	v_cvt_pkrtz_f16_f32 v82, v88, v89                          // 0000000086AC: D2960052 0002B358
	v_cvt_pkrtz_f16_f32 v83, v90, v91                          // 0000000086B4: D2960053 0002B75A
	v_cvt_pkrtz_f16_f32 v84, v92, v93                          // 0000000086BC: D2960054 0002BB5C
	v_cvt_pkrtz_f16_f32 v85, v94, v95                          // 0000000086C4: D2960055 0002BF5E
	v_cvt_pkrtz_f16_f32 v86, v96, v97                          // 0000000086CC: D2960056 0002C360
	v_cvt_pkrtz_f16_f32 v87, v98, v99                          // 0000000086D4: D2960057 0002C762
	v_mfma_f32_16x16x16_f16 v[192:195], v[138:139], v[170:171], v[192:195]// 0000000086DC: D3CD00C0 0703558A
	v_mov_b32_dpp v18, v82 quad_perm:[1,0,3,2] row_mask:0xf bank_mask:0xf// 0000000086E4: 7E2402FA FF00B152
	v_perm_b32 v58, v18, v82, v17                              // 0000000086EC: D1ED003A 0446A512
	v_mov_b32_dpp v18, v83 quad_perm:[1,0,3,2] row_mask:0xf bank_mask:0xf// 0000000086F4: 7E2402FA FF00B153
	v_perm_b32 v59, v18, v83, v17                              // 0000000086FC: D1ED003B 0446A712
	v_mov_b32_dpp v18, v84 quad_perm:[1,0,3,2] row_mask:0xf bank_mask:0xf// 000000008704: 7E2402FA FF00B154
	v_perm_b32 v60, v18, v84, v17                              // 00000000870C: D1ED003C 0446A912
	v_mfma_f32_16x16x16_f16 v[196:199], v[132:133], v[172:173], v[196:199]// 000000008714: D3CD00C4 07135984
	ds_write_b32 v20, v58 offset:24320                         // 00000000871C: D81A5F00 00003A14
	ds_write_b32 v20, v59 offset:24864                         // 000000008724: D81A6120 00003B14
	v_mfma_f32_16x16x16_f16 v[200:203], v[134:135], v[172:173], v[200:203]// 00000000872C: D3CD00C8 07235986
	v_mov_b32_dpp v18, v85 quad_perm:[1,0,3,2] row_mask:0xf bank_mask:0xf// 000000008734: 7E2402FA FF00B155
	v_perm_b32 v61, v18, v85, v17                              // 00000000873C: D1ED003D 0446AB12
	v_mov_b32_dpp v18, v86 quad_perm:[1,0,3,2] row_mask:0xf bank_mask:0xf// 000000008744: 7E2402FA FF00B156
	v_perm_b32 v62, v18, v86, v17                              // 00000000874C: D1ED003E 0446AD12
	v_mov_b32_dpp v18, v87 quad_perm:[1,0,3,2] row_mask:0xf bank_mask:0xf// 000000008754: 7E2402FA FF00B157
	v_perm_b32 v63, v18, v87, v17                              // 00000000875C: D1ED003F 0446AF12
	v_mfma_f32_16x16x16_f16 v[204:207], v[136:137], v[172:173], v[204:207]// 000000008764: D3CD00CC 07335988
	ds_write_b32 v20, v60 offset:26624                         // 00000000876C: D81A6800 00003C14
	ds_write_b32 v20, v61 offset:27168                         // 000000008774: D81A6A20 00003D14
	ds_write_b32 v20, v62 offset:28928                         // 00000000877C: D81A7100 00003E14
	ds_write_b32 v20, v63 offset:29472                         // 000000008784: D81A7320 00003F14
	v_mfma_f32_16x16x16_f16 v[208:211], v[138:139], v[172:173], v[208:211]// 00000000878C: D3CD00D0 0743598A
	v_mfma_f32_16x16x16_f16 v[212:215], v[132:133], v[174:175], v[212:215]// 000000008794: D3CD00D4 07535D84
	ds_write_b32 v15, v100 offset:4352                         // 00000000879C: D81A1100 0000640F
	ds_write_b32 v15, v101 offset:5408                         // 0000000087A4: D81A1520 0000650F
	v_mfma_f32_16x16x16_f16 v[216:219], v[134:135], v[174:175], v[216:219]// 0000000087AC: D3CD00D8 07635D86
	v_mfma_f32_16x16x16_f16 v[220:223], v[136:137], v[174:175], v[220:223]// 0000000087B4: D3CD00DC 07735D88
	ds_write_b32 v15, v102 offset:6528                         // 0000000087BC: D81A1980 0000660F
	ds_write_b32 v15, v103 offset:7584                         // 0000000087C4: D81A1DA0 0000670F
	v_mfma_f32_16x16x16_f16 v[224:227], v[138:139], v[174:175], v[224:227]// 0000000087CC: D3CD00E0 07835D8A
	s_nop 0                                                    // 0000000087D4: BF800000
	s_nop 0                                                    // 0000000087D8: BF800000
	s_nop 0                                                    // 0000000087DC: BF800000
	s_barrier                                                  // 0000000087E0: BF8A0000
	v_mfma_f32_16x16x16_f16 a[112:115], a[96:97], v[76:77], a[112:115]// 0000000087E4: D3CD8070 0DC29960
	ds_read_b32 v140, v23 offset:39936                         // 0000000087EC: D86C9C00 8C000017
	ds_read_b32 v144, v23 offset:40000                         // 0000000087F4: D86C9C40 90000017
	ds_read_b32 v176, v23 offset:40192                         // 0000000087FC: D86C9D00 B0000017
	ds_read_b32 v177, v23 offset:40256                         // 000000008804: D86C9D40 B1000017
	v_mfma_f32_16x16x16_f16 a[116:119], a[98:99], v[76:77], a[116:119]// 00000000880C: D3CD8074 0DD29962
	buffer_atomic_add_f32 v156, v6, s[32:35], 0 idxen          // 000000008814: E1342000 80089C06
	v_mfma_f32_16x16x16_f16 a[120:123], a[100:101], v[76:77], a[120:123]// 00000000881C: D3CD8078 0DE29964
	s_waitcnt lgkmcnt(8)                                       // 000000008824: BF8CC87F
	s_barrier                                                  // 000000008828: BF8A0000
	v_mfma_f32_16x16x16_f16 a[124:127], a[102:103], v[76:77], a[124:127]// 00000000882C: D3CD807C 0DF29966
	v_mfma_f32_16x16x16_f16 a[128:131], a[96:97], v[78:79], a[128:131]// 000000008834: D3CD8080 0E029D60
	ds_read_b128 v[52:55], v19 offset:17408                    // 00000000883C: D9FE4400 34000013
	v_mfma_f32_16x16x16_f16 a[132:135], a[98:99], v[78:79], a[132:135]// 000000008844: D3CD8084 0E129D62
	v_mfma_f32_16x16x16_f16 a[136:139], a[100:101], v[78:79], a[136:139]// 00000000884C: D3CD8088 0E229D64
	ds_read_b128 v[56:59], v19 offset:18560                    // 000000008854: D9FE4880 38000013
	v_mfma_f32_16x16x16_f16 a[140:143], a[102:103], v[78:79], a[140:143]// 00000000885C: D3CD808C 0E329D66
	buffer_atomic_add_f32 v157, v7, s[32:35], 0 idxen          // 000000008864: E1342000 80089D07
	v_mfma_f32_16x16x16_f16 a[144:147], a[96:97], v[80:81], a[144:147]// 00000000886C: D3CD8090 0E42A160
	ds_read_b128 v[60:63], v19 offset:19712                    // 000000008874: D9FE4D00 3C000013
	v_mfma_f32_16x16x16_f16 a[148:151], a[98:99], v[80:81], a[148:151]// 00000000887C: D3CD8094 0E52A162
	v_mfma_f32_16x16x16_f16 a[152:155], a[100:101], v[80:81], a[152:155]// 000000008884: D3CD8098 0E62A164
	ds_read_b128 v[64:67], v19 offset:20864                    // 00000000888C: D9FE5180 40000013
	v_mfma_f32_16x16x16_f16 a[156:159], a[102:103], v[80:81], a[156:159]// 000000008894: D3CD809C 0E72A166
	v_mfma_f32_16x16x16_f16 a[112:115], a[104:105], v[82:83], a[112:115]// 00000000889C: D3CD8070 0DC2A568
	ds_read_b128 v[68:71], v19 offset:22016                    // 0000000088A4: D9FE5600 44000013
	v_mfma_f32_16x16x16_f16 a[116:119], a[106:107], v[82:83], a[116:119]// 0000000088AC: D3CD8074 0DD2A56A
	buffer_atomic_add_f32 v158, v6, s[32:35], 0 idxen offset:128// 0000000088B4: E1342080 80089E06
	v_mfma_f32_16x16x16_f16 a[120:123], a[108:109], v[82:83], a[120:123]// 0000000088BC: D3CD8078 0DE2A56C
	ds_read_b128 v[72:75], v19 offset:23168                    // 0000000088C4: D9FE5A80 48000013
	v_mfma_f32_16x16x16_f16 a[124:127], a[110:111], v[82:83], a[124:127]// 0000000088CC: D3CD807C 0DF2A56E
	v_mfma_f32_16x16x16_f16 a[128:131], a[104:105], v[84:85], a[128:131]// 0000000088D4: D3CD8080 0E02A968
	ds_write_b32 v15, v104 offset:13056                        // 0000000088DC: D81A3300 0000680F
	v_mfma_f32_16x16x16_f16 a[132:135], a[106:107], v[84:85], a[132:135]// 0000000088E4: D3CD8084 0E12A96A
	v_mfma_f32_16x16x16_f16 a[136:139], a[108:109], v[84:85], a[136:139]// 0000000088EC: D3CD8088 0E22A96C
	ds_write_b32 v15, v105 offset:14112                        // 0000000088F4: D81A3720 0000690F
	v_mfma_f32_16x16x16_f16 a[140:143], a[110:111], v[84:85], a[140:143]// 0000000088FC: D3CD808C 0E32A96E
	buffer_atomic_add_f32 v159, v7, s[32:35], 0 idxen offset:128// 000000008904: E1342080 80089F07
	v_mfma_f32_16x16x16_f16 a[144:147], a[104:105], v[86:87], a[144:147]// 00000000890C: D3CD8090 0E42AD68
	ds_write_b32 v15, v106 offset:15232                        // 000000008914: D81A3B80 00006A0F
	v_mfma_f32_16x16x16_f16 a[148:151], a[106:107], v[86:87], a[148:151]// 00000000891C: D3CD8094 0E52AD6A
	v_mfma_f32_16x16x16_f16 a[152:155], a[108:109], v[86:87], a[152:155]// 000000008924: D3CD8098 0E62AD6C
	ds_write_b32 v15, v107 offset:16288                        // 00000000892C: D81A3FA0 00006B0F
	v_mfma_f32_16x16x16_f16 a[156:159], a[110:111], v[86:87], a[156:159]// 000000008934: D3CD809C 0E72AD6E
	s_waitcnt vmcnt(8) lgkmcnt(4)                              // 00000000893C: BF8C0478
	s_barrier                                                  // 000000008940: BF8A0000
	v_mfma_f32_16x16x16_f16 v[148:151], v[52:53], a[24:25], 0  // 000000008944: D3CD0094 12023134
	ds_read_b128 a[96:99], v12                                 // 00000000894C: DBFE0000 6000000C
	buffer_load_dword v40, v1, s[8:11], 0 idxen                // 000000008954: E0502000 80022801
	v_mfma_f32_16x16x16_f16 v[148:151], v[54:55], a[28:29], v[148:151]// 00000000895C: D3CD0094 16523936
	v_mul_f32_e32 v140, s48, v140                              // 000000008964: 0B191830
	v_mul_f32_e32 v144, s48, v144                              // 000000008968: 0B212030
	s_nop 0                                                    // 00000000896C: BF800000
	v_mfma_f32_16x16x16_f16 v[148:151], v[56:57], a[32:33], v[148:151]// 000000008970: D3CD0094 16524138
	ds_read_b128 a[100:103], v12 offset:512                    // 000000008978: DBFE0200 6400000C
	buffer_load_dword v41, v2, s[8:11], 0 idxen                // 000000008980: E0502000 80022902
	v_mfma_f32_16x16x16_f16 v[148:151], v[58:59], a[36:37], v[148:151]// 000000008988: D3CD0094 1652493A
	v_mfma_f32_16x16x16_f16 v[148:151], v[60:61], a[40:41], v[148:151]// 000000008990: D3CD0094 1652513C
	ds_read_b128 a[104:107], v12 offset:2176                   // 000000008998: DBFE0880 6800000C
	buffer_load_dword v42, v3, s[8:11], 0 idxen                // 0000000089A0: E0502000 80022A03
	v_mfma_f32_16x16x16_f16 v[148:151], v[62:63], a[44:45], v[148:151]// 0000000089A8: D3CD0094 1652593E
	v_perm_b32 v100, v37, v36, s63                             // 0000000089B0: D1ED0064 00FE4925
	v_perm_b32 v101, v37, v36, s64                             // 0000000089B8: D1ED0065 01024925
	v_mfma_f32_16x16x16_f16 v[148:151], v[64:65], a[48:49], v[148:151]// 0000000089C0: D3CD0094 16526140
	ds_read_b128 a[108:111], v12 offset:2688                   // 0000000089C8: DBFE0A80 6C00000C
	buffer_load_dword v43, v4, s[8:11], 0 idxen                // 0000000089D0: E0502000 80022B04
	v_mfma_f32_16x16x16_f16 v[148:151], v[66:67], a[52:53], v[148:151]// 0000000089D8: D3CD0094 16526942
	v_perm_b32 v102, v39, v38, s63                             // 0000000089E0: D1ED0066 00FE4D27
	v_perm_b32 v103, v39, v38, s64                             // 0000000089E8: D1ED0067 01024D27
	v_mfma_f32_16x16x16_f16 v[148:151], v[68:69], a[56:57], v[148:151]// 0000000089F0: D3CD0094 16527144
	ds_read_b128 v[108:111], v12 offset:8704                   // 0000000089F8: D9FE2200 6C00000C
	buffer_load_dword v48, v228, s[20:23], 0 idxen             // 000000008A00: E0502000 800530E4
	v_mfma_f32_16x16x16_f16 v[148:151], v[70:71], a[60:61], v[148:151]// 000000008A08: D3CD0094 16527946
	v_perm_b32 v104, v45, v44, s63                             // 000000008A10: D1ED0068 00FE592D
	v_perm_b32 v105, v45, v44, s64                             // 000000008A18: D1ED0069 0102592D
	v_mfma_f32_16x16x16_f16 v[148:151], v[72:73], a[64:65], v[148:151]// 000000008A20: D3CD0094 16528148
	ds_read_b128 v[112:115], v12 offset:9216                   // 000000008A28: D9FE2400 7000000C
	buffer_load_dword v49, v229, s[20:23], 0 idxen             // 000000008A30: E0502000 800531E5
	v_mfma_f32_16x16x16_f16 v[148:151], v[74:75], a[68:69], v[148:151]// 000000008A38: D3CD0094 1652894A
	v_perm_b32 v106, v47, v46, s63                             // 000000008A40: D1ED006A 00FE5D2F
	v_perm_b32 v107, v47, v46, s64                             // 000000008A48: D1ED006B 01025D2F
	v_mfma_f32_16x16x16_f16 v[152:155], v[52:53], a[26:27], 0  // 000000008A50: D3CD0098 12023534
	ds_read_b128 v[116:119], v12 offset:10880                  // 000000008A58: D9FE2A80 7400000C
	buffer_load_dword v50, v230, s[20:23], 0 idxen             // 000000008A60: E0502000 800532E6
	v_mfma_f32_16x16x16_f16 v[152:155], v[54:55], a[30:31], v[152:155]// 000000008A68: D3CD0098 16623D36
	v_mov_b32_dpp v143, v140 quad_perm:[3,3,3,3] row_mask:0xf bank_mask:0xf// 000000008A70: 7F1E02FA FF00FF8C
	v_mov_b32_dpp v142, v140 quad_perm:[2,2,2,2] row_mask:0xf bank_mask:0xf// 000000008A78: 7F1C02FA FF00AA8C
	v_mov_b32_dpp v141, v140 quad_perm:[1,1,1,1] row_mask:0xf bank_mask:0xf// 000000008A80: 7F1A02FA FF00558C
	v_mov_b32_dpp v140, v140 quad_perm:[0,0,0,0] row_mask:0xf bank_mask:0xf// 000000008A88: 7F1802FA FF00008C
	v_mfma_f32_16x16x16_f16 v[152:155], v[56:57], a[34:35], v[152:155]// 000000008A90: D3CD0098 16624538
	ds_read_b128 v[120:123], v12 offset:11392                  // 000000008A98: D9FE2C80 7800000C
	buffer_load_dword v51, v231, s[20:23], 0 idxen             // 000000008AA0: E0502000 800533E7
	v_mfma_f32_16x16x16_f16 v[152:155], v[58:59], a[38:39], v[152:155]// 000000008AA8: D3CD0098 16624D3A
	v_mov_b32_dpp v147, v144 quad_perm:[3,3,3,3] row_mask:0xf bank_mask:0xf// 000000008AB0: 7F2602FA FF00FF90
	v_mov_b32_dpp v146, v144 quad_perm:[2,2,2,2] row_mask:0xf bank_mask:0xf// 000000008AB8: 7F2402FA FF00AA90
	v_mov_b32_dpp v145, v144 quad_perm:[1,1,1,1] row_mask:0xf bank_mask:0xf// 000000008AC0: 7F2202FA FF005590
	v_mov_b32_dpp v144, v144 quad_perm:[0,0,0,0] row_mask:0xf bank_mask:0xf// 000000008AC8: 7F2002FA FF000090
	s_add_u32 s60, 0x80, s59                                   // 000000008AD0: 803C3BFF 00000080
	v_mfma_f32_16x16x16_f16 v[152:155], v[60:61], a[42:43], v[152:155]// 000000008AD8: D3CD0098 1662553C
	buffer_load_dword v11, s[24:27], 0 idxen lds               // 000000008AE0: E0512000 8006000B
	v_mfma_f32_16x16x16_f16 v[152:155], v[62:63], a[46:47], v[152:155]// 000000008AE8: D3CD0098 16625D3E
	s_cmp_lt_u32 s60, s58                                      // 000000008AF0: BF0A3A3C
	s_cselect_b32 s68, s68, 0                                  // 000000008AF4: 85448044
	s_cselect_b32 s100, s100, 0                                // 000000008AF8: 85648064
	s_cselect_b32 s69, s69, 0                                  // 000000008AFC: 85458045
	v_mfma_f32_16x16x16_f16 v[152:155], v[64:65], a[50:51], v[152:155]// 000000008B00: D3CD0098 16626540
	v_add_u32_e32 v1, s68, v1                                  // 000000008B08: 68020244
	v_add_u32_e32 v2, s68, v2                                  // 000000008B0C: 68040444
	v_add_u32_e32 v3, s68, v3                                  // 000000008B10: 68060644
	v_add_u32_e32 v4, s68, v4                                  // 000000008B14: 68080844
	v_mfma_f32_16x16x16_f16 v[152:155], v[66:67], a[54:55], v[152:155]// 000000008B18: D3CD0098 16626D42
	v_add_u32_e32 v228, s100, v228                             // 000000008B20: 69C9C864
	v_add_u32_e32 v229, s100, v229                             // 000000008B24: 69CBCA64
	v_add_u32_e32 v230, s100, v230                             // 000000008B28: 69CDCC64
	v_add_u32_e32 v231, s100, v231                             // 000000008B2C: 69CFCE64
	v_mfma_f32_16x16x16_f16 v[152:155], v[68:69], a[58:59], v[152:155]// 000000008B30: D3CD0098 16627544
	s_mov_b32 m0, s78                                          // 000000008B38: BEFC004E
	v_add_u32_e32 v11, s69, v11                                // 000000008B3C: 68161645
	v_mfma_f32_16x16x16_f16 v[152:155], v[70:71], a[62:63], v[152:155]// 000000008B40: D3CD0098 16627D46
	s_cmp_ge_u32 s59, s73                                      // 000000008B48: BF09493B
	s_cselect_b32 s66, s67, s66                                // 000000008B4C: 85424243
	v_mfma_f32_16x16x16_f16 v[152:155], v[72:73], a[66:67], v[152:155]// 000000008B50: D3CD0098 16628548
	s_addk_i32 s59, 0x20                                       // 000000008B58: B73B0020
	s_nop 0                                                    // 000000008B5C: BF800000
	s_cmp_lt_i32 s59, s58                                      // 000000008B60: BF043A3B
	v_mfma_f32_16x16x16_f16 v[152:155], v[74:75], a[70:71], v[152:155]// 000000008B64: D3CD0098 16628D4A
	s_cbranch_scc0 label_0EC1                                  // 000000008B6C: BF84FBD3
	s_waitcnt lgkmcnt(4)                                       // 000000008B70: BF8CC47F
	s_barrier                                                  // 000000008B74: BF8A0000
	v_mfma_f32_16x16x16_f16 v[52:55], a[96:97], a[0:1], 0      // 000000008B78: D3CD0034 1A020160
	v_mul_f32_e32 v148, s47, v148                              // 000000008B80: 0B29282F
	v_mul_f32_e32 v149, s47, v149                              // 000000008B84: 0B2B2A2F
	v_mfma_f32_16x16x16_f16 v[52:55], a[98:99], a[2:3], v[52:55]// 000000008B88: D3CD0034 1CD20562
	ds_write_b32 v13, v44 offset:8704                          // 000000008B90: D81A2200 00002C0D
	ds_write_b32 v13, v45 offset:9760                          // 000000008B98: D81A2620 00002D0D
	v_mfma_f32_16x16x16_f16 v[52:55], a[100:101], a[4:5], v[52:55]// 000000008BA0: D3CD0034 1CD20964
	v_mul_f32_e32 v150, s47, v150                              // 000000008BA8: 0B2D2C2F
	v_mul_f32_e32 v151, s47, v151                              // 000000008BAC: 0B2F2E2F
	v_mfma_f32_16x16x16_f16 v[52:55], a[102:103], a[6:7], v[52:55]// 000000008BB0: D3CD0034 1CD20D66
	ds_write_b32 v13, v46 offset:10880                         // 000000008BB8: D81A2A80 00002E0D
	ds_write_b32 v13, v47 offset:11936                         // 000000008BC0: D81A2EA0 00002F0D
	v_mfma_f32_16x16x16_f16 v[56:59], a[96:97], a[8:9], 0      // 000000008BC8: D3CD0038 1A021160
	v_mul_f32_e32 v152, s47, v152                              // 000000008BD0: 0B31302F
	v_mul_f32_e32 v153, s47, v153                              // 000000008BD4: 0B33322F
	v_mfma_f32_16x16x16_f16 v[56:59], a[98:99], a[10:11], v[56:59]// 000000008BD8: D3CD0038 1CE21562
	ds_write_b64 v22, v[148:149] offset:31232                  // 000000008BE0: D89A7A00 00009416
	v_mfma_f32_16x16x16_f16 v[56:59], a[100:101], a[12:13], v[56:59]// 000000008BE8: D3CD0038 1CE21964
	v_mul_f32_e32 v154, s47, v154                              // 000000008BF0: 0B35342F
	v_mul_f32_e32 v155, s47, v155                              // 000000008BF4: 0B37362F
	v_mfma_f32_16x16x16_f16 v[56:59], a[102:103], a[14:15], v[56:59]// 000000008BF8: D3CD0038 1CE21D66
	ds_write_b64 v22, v[150:151] offset:31744                  // 000000008C00: D89A7C00 00009616
	v_mfma_f32_16x16x16_f16 v[60:63], a[96:97], a[16:17], 0    // 000000008C08: D3CD003C 1A022160
	buffer_atomic_add_f32 v160, v8, s[32:35], 0 idxen          // 000000008C10: E1342000 8008A008
	v_mfma_f32_16x16x16_f16 v[60:63], a[98:99], a[18:19], v[60:63]// 000000008C18: D3CD003C 1CF22562
	ds_write_b64 v22, v[152:153] offset:32256                  // 000000008C20: D89A7E00 00009816
	v_mfma_f32_16x16x16_f16 v[60:63], a[100:101], a[20:21], v[60:63]// 000000008C28: D3CD003C 1CF22964
	v_mfma_f32_16x16x16_f16 v[60:63], a[102:103], a[22:23], v[60:63]// 000000008C30: D3CD003C 1CF22D66
	ds_write_b64 v22, v[154:155] offset:32768                  // 000000008C38: D89A8000 00009A16
	v_mfma_f32_16x16x16_f16 v[64:67], a[104:105], a[0:1], 0    // 000000008C40: D3CD0040 1A020168
	buffer_atomic_add_f32 v161, v9, s[32:35], 0 idxen          // 000000008C48: E1342000 8008A109
	v_mfma_f32_16x16x16_f16 v[64:67], a[106:107], a[2:3], v[64:67]// 000000008C50: D3CD0040 1D02056A
	ds_read_b128 v[124:127], v14 offset:13056                  // 000000008C58: D9FE3300 7C00000E
	ds_write_b32 v13, v36                                      // 000000008C60: D81A0000 0000240D
	v_mfma_f32_16x16x16_f16 v[64:67], a[108:109], a[4:5], v[64:67]// 000000008C68: D3CD0040 1D02096C
	v_mfma_f32_16x16x16_f16 v[64:67], a[110:111], a[6:7], v[64:67]// 000000008C70: D3CD0040 1D020D6E
	v_mfma_f32_16x16x16_f16 v[68:71], a[104:105], a[8:9], 0    // 000000008C78: D3CD0044 1A021168
	ds_read_b128 v[128:131], v14 offset:13568                  // 000000008C80: D9FE3500 8000000E
	ds_write_b32 v13, v37 offset:1056                          // 000000008C88: D81A0420 0000250D
	v_mfma_f32_16x16x16_f16 v[68:71], a[106:107], a[10:11], v[68:71]// 000000008C90: D3CD0044 1D12156A
	buffer_atomic_add_f32 v162, v8, s[32:35], 0 idxen offset:128// 000000008C98: E1342080 8008A208
	v_mfma_f32_16x16x16_f16 v[68:71], a[108:109], a[12:13], v[68:71]// 000000008CA0: D3CD0044 1D12196C
	v_mfma_f32_16x16x16_f16 v[68:71], a[110:111], a[14:15], v[68:71]// 000000008CA8: D3CD0044 1D121D6E
	ds_read_b128 v[132:135], v14 offset:15232                  // 000000008CB0: D9FE3B80 8400000E
	ds_write_b32 v13, v38 offset:2176                          // 000000008CB8: D81A0880 0000260D
	v_mfma_f32_16x16x16_f16 v[72:75], a[104:105], a[16:17], 0  // 000000008CC0: D3CD0048 1A022168
	v_mfma_f32_16x16x16_f16 v[72:75], a[106:107], a[18:19], v[72:75]// 000000008CC8: D3CD0048 1D22256A
	buffer_atomic_add_f32 v163, v9, s[32:35], 0 idxen offset:128// 000000008CD0: E1342080 8008A309
	v_mfma_f32_16x16x16_f16 v[72:75], a[108:109], a[20:21], v[72:75]// 000000008CD8: D3CD0048 1D22296C
	ds_read_b128 v[136:139], v14 offset:15744                  // 000000008CE0: D9FE3D80 8800000E
	ds_write_b32 v13, v39 offset:3232                          // 000000008CE8: D81A0CA0 0000270D
	v_mfma_f32_16x16x16_f16 v[72:75], a[110:111], a[22:23], v[72:75]// 000000008CF0: D3CD0048 1D222D6E
	s_cmp_lt_i32 s74, 12                                       // 000000008CF8: BF048C4A
	s_cbranch_scc0 label_1441                                  // 000000008CFC: BF8400E6
	s_mov_b32 s60, 0xffe0fffe                                  // 000000008D00: BEBC00FF FFE0FFFE
	s_mov_b32 s61, 0xe000fe00                                  // 000000008D08: BEBD00FF E000FE00
	s_nop 0                                                    // 000000008D10: BF800000
	s_add_u32 s62, 0, s46                                      // 000000008D14: 803E2E80
	s_cmp_lt_i32 s74, s62                                      // 000000008D18: BF043E4A
	s_cbranch_scc1 label_138B                                  // 000000008D1C: BF850028
	s_cmp_eq_i32 s74, s62                                      // 000000008D20: BF003E4A
	s_cbranch_scc1 label_1370                                  // 000000008D24: BF85000B
	s_add_u32 s62, 4, s46                                      // 000000008D28: 803E2E84
	s_cmp_lt_i32 s74, s62                                      // 000000008D2C: BF043E4A
	s_cbranch_scc1 label_13AB                                  // 000000008D30: BF850043
	s_cmp_eq_i32 s74, s62                                      // 000000008D34: BF003E4A
	s_cbranch_scc1 label_1390                                  // 000000008D38: BF850026
	s_add_u32 s62, 8, s46                                      // 000000008D3C: 803E2E88
	s_cmp_lt_i32 s74, s62                                      // 000000008D40: BF043E4A
	s_cbranch_scc1 label_13CB                                  // 000000008D44: BF85005E
	s_cmp_eq_i32 s74, s62                                      // 000000008D48: BF003E4A
	s_cbranch_scc1 label_13B0                                  // 000000008D4C: BF850041
	s_branch label_13D0                                        // 000000008D50: BF820060

0000000000008d54 <label_1370>:
	v_cndmask_b32_e64 v52, v52, v178, s[60:61]                 // 000000008D54: D1000034 00F36534
	s_lshl_b32 s60, s60, 1                                     // 000000008D5C: 8E3C813C
	s_lshl_b32 s61, s61, 1                                     // 000000008D60: 8E3D813D
	s_and_b32 s60, 0xfffeffff, s60                             // 000000008D64: 863C3CFF FFFEFFFF
	s_and_b32 s61, 0xfffeffff, s61                             // 000000008D6C: 863D3DFF FFFEFFFF
	v_cndmask_b32_e64 v53, v53, v178, s[60:61]                 // 000000008D74: D1000035 00F36535
	s_lshl_b32 s60, s60, 1                                     // 000000008D7C: 8E3C813C
	s_lshl_b32 s61, s61, 1                                     // 000000008D80: 8E3D813D
	s_and_b32 s60, 0xfffeffff, s60                             // 000000008D84: 863C3CFF FFFEFFFF
	s_and_b32 s61, 0xfffeffff, s61                             // 000000008D8C: 863D3DFF FFFEFFFF
	v_cndmask_b32_e64 v54, v54, v178, s[60:61]                 // 000000008D94: D1000036 00F36536
	s_lshl_b32 s60, s60, 1                                     // 000000008D9C: 8E3C813C
	s_lshl_b32 s61, s61, 1                                     // 000000008DA0: 8E3D813D
	s_and_b32 s60, 0xfffeffff, s60                             // 000000008DA4: 863C3CFF FFFEFFFF
	s_and_b32 s61, 0xfffeffff, s61                             // 000000008DAC: 863D3DFF FFFEFFFF
	v_cndmask_b32_e64 v55, v55, v178, s[60:61]                 // 000000008DB4: D1000037 00F36537
	s_branch label_13AB                                        // 000000008DBC: BF820020

0000000000008dc0 <label_138B>:
	v_mov_b32_e32 v52, v178                                    // 000000008DC0: 7E6803B2
	v_mov_b32_e32 v53, v178                                    // 000000008DC4: 7E6A03B2
	v_mov_b32_e32 v54, v178                                    // 000000008DC8: 7E6C03B2
	v_mov_b32_e32 v55, v178                                    // 000000008DCC: 7E6E03B2
	s_branch label_13AB                                        // 000000008DD0: BF82001B

0000000000008dd4 <label_1390>:
	v_cndmask_b32_e64 v56, v56, v178, s[60:61]                 // 000000008DD4: D1000038 00F36538
	s_lshl_b32 s60, s60, 1                                     // 000000008DDC: 8E3C813C
	s_lshl_b32 s61, s61, 1                                     // 000000008DE0: 8E3D813D
	s_and_b32 s60, 0xfffeffff, s60                             // 000000008DE4: 863C3CFF FFFEFFFF
	s_and_b32 s61, 0xfffeffff, s61                             // 000000008DEC: 863D3DFF FFFEFFFF
	v_cndmask_b32_e64 v57, v57, v178, s[60:61]                 // 000000008DF4: D1000039 00F36539
	s_lshl_b32 s60, s60, 1                                     // 000000008DFC: 8E3C813C
	s_lshl_b32 s61, s61, 1                                     // 000000008E00: 8E3D813D
	s_and_b32 s60, 0xfffeffff, s60                             // 000000008E04: 863C3CFF FFFEFFFF
	s_and_b32 s61, 0xfffeffff, s61                             // 000000008E0C: 863D3DFF FFFEFFFF
	v_cndmask_b32_e64 v58, v58, v178, s[60:61]                 // 000000008E14: D100003A 00F3653A
	s_lshl_b32 s60, s60, 1                                     // 000000008E1C: 8E3C813C
	s_lshl_b32 s61, s61, 1                                     // 000000008E20: 8E3D813D
	s_and_b32 s60, 0xfffeffff, s60                             // 000000008E24: 863C3CFF FFFEFFFF
	s_and_b32 s61, 0xfffeffff, s61                             // 000000008E2C: 863D3DFF FFFEFFFF
	v_cndmask_b32_e64 v59, v59, v178, s[60:61]                 // 000000008E34: D100003B 00F3653B
	s_branch label_13CB                                        // 000000008E3C: BF820020

0000000000008e40 <label_13AB>:
	v_mov_b32_e32 v56, v178                                    // 000000008E40: 7E7003B2
	v_mov_b32_e32 v57, v178                                    // 000000008E44: 7E7203B2
	v_mov_b32_e32 v58, v178                                    // 000000008E48: 7E7403B2
	v_mov_b32_e32 v59, v178                                    // 000000008E4C: 7E7603B2
	s_branch label_13CB                                        // 000000008E50: BF82001B

0000000000008e54 <label_13B0>:
	v_cndmask_b32_e64 v60, v60, v178, s[60:61]                 // 000000008E54: D100003C 00F3653C
	s_lshl_b32 s60, s60, 1                                     // 000000008E5C: 8E3C813C
	s_lshl_b32 s61, s61, 1                                     // 000000008E60: 8E3D813D
	s_and_b32 s60, 0xfffeffff, s60                             // 000000008E64: 863C3CFF FFFEFFFF
	s_and_b32 s61, 0xfffeffff, s61                             // 000000008E6C: 863D3DFF FFFEFFFF
	v_cndmask_b32_e64 v61, v61, v178, s[60:61]                 // 000000008E74: D100003D 00F3653D
	s_lshl_b32 s60, s60, 1                                     // 000000008E7C: 8E3C813C
	s_lshl_b32 s61, s61, 1                                     // 000000008E80: 8E3D813D
	s_and_b32 s60, 0xfffeffff, s60                             // 000000008E84: 863C3CFF FFFEFFFF
	s_and_b32 s61, 0xfffeffff, s61                             // 000000008E8C: 863D3DFF FFFEFFFF
	v_cndmask_b32_e64 v62, v62, v178, s[60:61]                 // 000000008E94: D100003E 00F3653E
	s_lshl_b32 s60, s60, 1                                     // 000000008E9C: 8E3C813C
	s_lshl_b32 s61, s61, 1                                     // 000000008EA0: 8E3D813D
	s_and_b32 s60, 0xfffeffff, s60                             // 000000008EA4: 863C3CFF FFFEFFFF
	s_and_b32 s61, 0xfffeffff, s61                             // 000000008EAC: 863D3DFF FFFEFFFF
	v_cndmask_b32_e64 v63, v63, v178, s[60:61]                 // 000000008EB4: D100003F 00F3653F
	s_branch label_13D0                                        // 000000008EBC: BF820005

0000000000008ec0 <label_13CB>:
	v_mov_b32_e32 v60, v178                                    // 000000008EC0: 7E7803B2
	v_mov_b32_e32 v61, v178                                    // 000000008EC4: 7E7A03B2
	v_mov_b32_e32 v62, v178                                    // 000000008EC8: 7E7C03B2
	v_mov_b32_e32 v63, v178                                    // 000000008ECC: 7E7E03B2
	s_branch label_13D0                                        // 000000008ED0: BF820000

0000000000008ed4 <label_13D0>:
	s_addk_i32 s74, 0x1                                        // 000000008ED4: B74A0001
	s_add_u32 s62, 0, s46                                      // 000000008ED8: 803E2E80
	s_cmp_lt_i32 s74, s62                                      // 000000008EDC: BF043E4A
	s_cbranch_scc1 label_13FC                                  // 000000008EE0: BF850028
	s_cmp_eq_i32 s74, s62                                      // 000000008EE4: BF003E4A
	s_cbranch_scc1 label_13E1                                  // 000000008EE8: BF85000B
	s_add_u32 s62, 4, s46                                      // 000000008EEC: 803E2E84
	s_cmp_lt_i32 s74, s62                                      // 000000008EF0: BF043E4A
	s_cbranch_scc1 label_141C                                  // 000000008EF4: BF850043
	s_cmp_eq_i32 s74, s62                                      // 000000008EF8: BF003E4A
	s_cbranch_scc1 label_1401                                  // 000000008EFC: BF850026
	s_add_u32 s62, 8, s46                                      // 000000008F00: 803E2E88
	s_cmp_lt_i32 s74, s62                                      // 000000008F04: BF043E4A
	s_cbranch_scc1 label_143C                                  // 000000008F08: BF85005E
	s_cmp_eq_i32 s74, s62                                      // 000000008F0C: BF003E4A
	s_cbranch_scc1 label_1421                                  // 000000008F10: BF850041
	s_branch label_1441                                        // 000000008F14: BF820060

0000000000008f18 <label_13E1>:
	v_cndmask_b32_e64 v64, v64, v178, s[60:61]                 // 000000008F18: D1000040 00F36540
	s_lshl_b32 s60, s60, 1                                     // 000000008F20: 8E3C813C
	s_lshl_b32 s61, s61, 1                                     // 000000008F24: 8E3D813D
	s_and_b32 s60, 0xfffeffff, s60                             // 000000008F28: 863C3CFF FFFEFFFF
	s_and_b32 s61, 0xfffeffff, s61                             // 000000008F30: 863D3DFF FFFEFFFF
	v_cndmask_b32_e64 v65, v65, v178, s[60:61]                 // 000000008F38: D1000041 00F36541
	s_lshl_b32 s60, s60, 1                                     // 000000008F40: 8E3C813C
	s_lshl_b32 s61, s61, 1                                     // 000000008F44: 8E3D813D
	s_and_b32 s60, 0xfffeffff, s60                             // 000000008F48: 863C3CFF FFFEFFFF
	s_and_b32 s61, 0xfffeffff, s61                             // 000000008F50: 863D3DFF FFFEFFFF
	v_cndmask_b32_e64 v66, v66, v178, s[60:61]                 // 000000008F58: D1000042 00F36542
	s_lshl_b32 s60, s60, 1                                     // 000000008F60: 8E3C813C
	s_lshl_b32 s61, s61, 1                                     // 000000008F64: 8E3D813D
	s_and_b32 s60, 0xfffeffff, s60                             // 000000008F68: 863C3CFF FFFEFFFF
	s_and_b32 s61, 0xfffeffff, s61                             // 000000008F70: 863D3DFF FFFEFFFF
	v_cndmask_b32_e64 v67, v67, v178, s[60:61]                 // 000000008F78: D1000043 00F36543
	s_branch label_141C                                        // 000000008F80: BF820020

0000000000008f84 <label_13FC>:
	v_mov_b32_e32 v64, v178                                    // 000000008F84: 7E8003B2
	v_mov_b32_e32 v65, v178                                    // 000000008F88: 7E8203B2
	v_mov_b32_e32 v66, v178                                    // 000000008F8C: 7E8403B2
	v_mov_b32_e32 v67, v178                                    // 000000008F90: 7E8603B2
	s_branch label_141C                                        // 000000008F94: BF82001B

0000000000008f98 <label_1401>:
	v_cndmask_b32_e64 v68, v68, v178, s[60:61]                 // 000000008F98: D1000044 00F36544
	s_lshl_b32 s60, s60, 1                                     // 000000008FA0: 8E3C813C
	s_lshl_b32 s61, s61, 1                                     // 000000008FA4: 8E3D813D
	s_and_b32 s60, 0xfffeffff, s60                             // 000000008FA8: 863C3CFF FFFEFFFF
	s_and_b32 s61, 0xfffeffff, s61                             // 000000008FB0: 863D3DFF FFFEFFFF
	v_cndmask_b32_e64 v69, v69, v178, s[60:61]                 // 000000008FB8: D1000045 00F36545
	s_lshl_b32 s60, s60, 1                                     // 000000008FC0: 8E3C813C
	s_lshl_b32 s61, s61, 1                                     // 000000008FC4: 8E3D813D
	s_and_b32 s60, 0xfffeffff, s60                             // 000000008FC8: 863C3CFF FFFEFFFF
	s_and_b32 s61, 0xfffeffff, s61                             // 000000008FD0: 863D3DFF FFFEFFFF
	v_cndmask_b32_e64 v70, v70, v178, s[60:61]                 // 000000008FD8: D1000046 00F36546
	s_lshl_b32 s60, s60, 1                                     // 000000008FE0: 8E3C813C
	s_lshl_b32 s61, s61, 1                                     // 000000008FE4: 8E3D813D
	s_and_b32 s60, 0xfffeffff, s60                             // 000000008FE8: 863C3CFF FFFEFFFF
	s_and_b32 s61, 0xfffeffff, s61                             // 000000008FF0: 863D3DFF FFFEFFFF
	v_cndmask_b32_e64 v71, v71, v178, s[60:61]                 // 000000008FF8: D1000047 00F36547
	s_branch label_143C                                        // 000000009000: BF820020

0000000000009004 <label_141C>:
	v_mov_b32_e32 v68, v178                                    // 000000009004: 7E8803B2
	v_mov_b32_e32 v69, v178                                    // 000000009008: 7E8A03B2
	v_mov_b32_e32 v70, v178                                    // 00000000900C: 7E8C03B2
	v_mov_b32_e32 v71, v178                                    // 000000009010: 7E8E03B2
	s_branch label_143C                                        // 000000009014: BF82001B

0000000000009018 <label_1421>:
	v_cndmask_b32_e64 v72, v72, v178, s[60:61]                 // 000000009018: D1000048 00F36548
	s_lshl_b32 s60, s60, 1                                     // 000000009020: 8E3C813C
	s_lshl_b32 s61, s61, 1                                     // 000000009024: 8E3D813D
	s_and_b32 s60, 0xfffeffff, s60                             // 000000009028: 863C3CFF FFFEFFFF
	s_and_b32 s61, 0xfffeffff, s61                             // 000000009030: 863D3DFF FFFEFFFF
	v_cndmask_b32_e64 v73, v73, v178, s[60:61]                 // 000000009038: D1000049 00F36549
	s_lshl_b32 s60, s60, 1                                     // 000000009040: 8E3C813C
	s_lshl_b32 s61, s61, 1                                     // 000000009044: 8E3D813D
	s_and_b32 s60, 0xfffeffff, s60                             // 000000009048: 863C3CFF FFFEFFFF
	s_and_b32 s61, 0xfffeffff, s61                             // 000000009050: 863D3DFF FFFEFFFF
	v_cndmask_b32_e64 v74, v74, v178, s[60:61]                 // 000000009058: D100004A 00F3654A
	s_lshl_b32 s60, s60, 1                                     // 000000009060: 8E3C813C
	s_lshl_b32 s61, s61, 1                                     // 000000009064: 8E3D813D
	s_and_b32 s60, 0xfffeffff, s60                             // 000000009068: 863C3CFF FFFEFFFF
	s_and_b32 s61, 0xfffeffff, s61                             // 000000009070: 863D3DFF FFFEFFFF
	v_cndmask_b32_e64 v75, v75, v178, s[60:61]                 // 000000009078: D100004B 00F3654B
	s_branch label_1441                                        // 000000009080: BF820005

0000000000009084 <label_143C>:
	v_mov_b32_e32 v72, v178                                    // 000000009084: 7E9003B2
	v_mov_b32_e32 v73, v178                                    // 000000009088: 7E9203B2
	v_mov_b32_e32 v74, v178                                    // 00000000908C: 7E9403B2
	v_mov_b32_e32 v75, v178                                    // 000000009090: 7E9603B2
	s_branch label_1441                                        // 000000009094: BF820000

0000000000009098 <label_1441>:
	s_cmp_lt_i32 s84, 0xc0                                     // 000000009098: BF04FF54 000000C0
	s_cbranch_scc0 label_14BA                                  // 0000000090A0: BF84006D
	s_cmp_le_i32 s84, 64                                       // 0000000090A4: BF05C054
	s_cbranch_scc1 label_144D                                  // 0000000090A8: BF850007
	s_cmp_le_i32 s84, 0x80                                     // 0000000090AC: BF05FF54 00000080
	s_cbranch_scc1 label_1471                                  // 0000000090B4: BF85001F
	s_cmp_lt_i32 s84, 0xc0                                     // 0000000090B8: BF04FF54 000000C0
	s_cbranch_scc1 label_1495                                  // 0000000090C0: BF850040
	s_branch label_14BA                                        // 0000000090C4: BF820064

00000000000090c8 <label_144D>:
	s_mov_b32 s60, 0                                           // 0000000090C8: BEBC0080
	v_and_b32_e32 v32, 15, v0                                  // 0000000090CC: 2640008F
	v_add_u32_e64 v32, v32, s60                                // 0000000090D0: D1340020 00007920
	v_mul_i32_i24_e64 v33, s46, 16                             // 0000000090D8: D1060021 0001202E
	v_add_u32_e32 v32, v32, v33                                // 0000000090E0: 68404320
	v_cmp_lt_u32_e64 s[60:61], v32, s84                        // 0000000090E4: D0C9003C 0000A920
	s_nop 1                                                    // 0000000090EC: BF800001
	v_cndmask_b32_e64 v52, v178, v52, s[60:61]                 // 0000000090F0: D1000034 00F269B2
	v_cndmask_b32_e64 v64, v178, v64, s[60:61]                 // 0000000090F8: D1000040 00F281B2
	v_cndmask_b32_e64 v53, v178, v53, s[60:61]                 // 000000009100: D1000035 00F26BB2
	v_cndmask_b32_e64 v65, v178, v65, s[60:61]                 // 000000009108: D1000041 00F283B2
	v_cndmask_b32_e64 v54, v178, v54, s[60:61]                 // 000000009110: D1000036 00F26DB2
	v_cndmask_b32_e64 v66, v178, v66, s[60:61]                 // 000000009118: D1000042 00F285B2
	v_cndmask_b32_e64 v55, v178, v55, s[60:61]                 // 000000009120: D1000037 00F26FB2
	v_cndmask_b32_e64 v67, v178, v67, s[60:61]                 // 000000009128: D1000043 00F287B2
	s_branch label_148C                                        // 000000009130: BF82001B

0000000000009134 <label_1471>:
	s_mov_b32 s60, 64                                          // 000000009134: BEBC00C0
	v_and_b32_e32 v32, 15, v0                                  // 000000009138: 2640008F
	v_add_u32_e64 v32, v32, s60                                // 00000000913C: D1340020 00007920
	v_mul_i32_i24_e64 v33, s46, 16                             // 000000009144: D1060021 0001202E
	v_add_u32_e32 v32, v32, v33                                // 00000000914C: 68404320
	v_cmp_lt_u32_e64 s[60:61], v32, s84                        // 000000009150: D0C9003C 0000A920
	s_nop 1                                                    // 000000009158: BF800001
	v_cndmask_b32_e64 v56, v178, v56, s[60:61]                 // 00000000915C: D1000038 00F271B2
	v_cndmask_b32_e64 v68, v178, v68, s[60:61]                 // 000000009164: D1000044 00F289B2
	v_cndmask_b32_e64 v57, v178, v57, s[60:61]                 // 00000000916C: D1000039 00F273B2
	v_cndmask_b32_e64 v69, v178, v69, s[60:61]                 // 000000009174: D1000045 00F28BB2
	v_cndmask_b32_e64 v58, v178, v58, s[60:61]                 // 00000000917C: D100003A 00F275B2
	v_cndmask_b32_e64 v70, v178, v70, s[60:61]                 // 000000009184: D1000046 00F28DB2
	v_cndmask_b32_e64 v59, v178, v59, s[60:61]                 // 00000000918C: D100003B 00F277B2
	v_cndmask_b32_e64 v71, v178, v71, s[60:61]                 // 000000009194: D1000047 00F28FB2
	s_branch label_14B1                                        // 00000000919C: BF820025

00000000000091a0 <label_148C>:
	v_mov_b32_e32 v56, v178                                    // 0000000091A0: 7E7003B2
	v_mov_b32_e32 v68, v178                                    // 0000000091A4: 7E8803B2
	v_mov_b32_e32 v57, v178                                    // 0000000091A8: 7E7203B2
	v_mov_b32_e32 v69, v178                                    // 0000000091AC: 7E8A03B2
	v_mov_b32_e32 v58, v178                                    // 0000000091B0: 7E7403B2
	v_mov_b32_e32 v70, v178                                    // 0000000091B4: 7E8C03B2
	v_mov_b32_e32 v59, v178                                    // 0000000091B8: 7E7603B2
	v_mov_b32_e32 v71, v178                                    // 0000000091BC: 7E8E03B2
	s_branch label_14B1                                        // 0000000091C0: BF82001C

00000000000091c4 <label_1495>:
	s_mov_b32 s60, 0x80                                        // 0000000091C4: BEBC00FF 00000080
	v_and_b32_e32 v32, 15, v0                                  // 0000000091CC: 2640008F
	v_add_u32_e64 v32, v32, s60                                // 0000000091D0: D1340020 00007920
	v_mul_i32_i24_e64 v33, s46, 16                             // 0000000091D8: D1060021 0001202E
	v_add_u32_e32 v32, v32, v33                                // 0000000091E0: 68404320
	v_cmp_lt_u32_e64 s[60:61], v32, s84                        // 0000000091E4: D0C9003C 0000A920
	s_nop 1                                                    // 0000000091EC: BF800001
	v_cndmask_b32_e64 v60, v178, v60, s[60:61]                 // 0000000091F0: D100003C 00F279B2
	v_cndmask_b32_e64 v72, v178, v72, s[60:61]                 // 0000000091F8: D1000048 00F291B2
	v_cndmask_b32_e64 v61, v178, v61, s[60:61]                 // 000000009200: D100003D 00F27BB2
	v_cndmask_b32_e64 v73, v178, v73, s[60:61]                 // 000000009208: D1000049 00F293B2
	v_cndmask_b32_e64 v62, v178, v62, s[60:61]                 // 000000009210: D100003E 00F27DB2
	v_cndmask_b32_e64 v74, v178, v74, s[60:61]                 // 000000009218: D100004A 00F295B2
	v_cndmask_b32_e64 v63, v178, v63, s[60:61]                 // 000000009220: D100003F 00F27FB2
	v_cndmask_b32_e64 v75, v178, v75, s[60:61]                 // 000000009228: D100004B 00F297B2
	s_branch label_14BA                                        // 000000009230: BF820009

0000000000009234 <label_14B1>:
	v_mov_b32_e32 v60, v178                                    // 000000009234: 7E7803B2
	v_mov_b32_e32 v72, v178                                    // 000000009238: 7E9003B2
	v_mov_b32_e32 v61, v178                                    // 00000000923C: 7E7A03B2
	v_mov_b32_e32 v73, v178                                    // 000000009240: 7E9203B2
	v_mov_b32_e32 v62, v178                                    // 000000009244: 7E7C03B2
	v_mov_b32_e32 v74, v178                                    // 000000009248: 7E9403B2
	v_mov_b32_e32 v63, v178                                    // 00000000924C: 7E7E03B2
	v_mov_b32_e32 v75, v178                                    // 000000009250: 7E9603B2
	s_branch label_14BA                                        // 000000009254: BF820000

0000000000009258 <label_14BA>:
	s_addk_i32 s74, 0x1                                        // 000000009258: B74A0001
	s_waitcnt lgkmcnt(8)                                       // 00000000925C: BF8CC87F
	s_barrier                                                  // 000000009260: BF8A0000
	v_mfma_f32_16x16x16_f16 v[76:79], v[108:109], a[72:73], 0  // 000000009264: D3CD004C 1202916C
	v_fma_f32 v52, v52, s57, -v140                             // 00000000926C: D1CB0034 86307334
	v_fma_f32 v53, v53, s57, -v141                             // 000000009274: D1CB0035 86347335
	v_fma_f32 v54, v54, s57, -v142                             // 00000000927C: D1CB0036 86387336
	v_fma_f32 v55, v55, s57, -v143                             // 000000009284: D1CB0037 863C7337
	v_fma_f32 v56, v56, s57, -v140                             // 00000000928C: D1CB0038 86307338
	v_fma_f32 v57, v57, s57, -v141                             // 000000009294: D1CB0039 86347339
	v_mfma_f32_16x16x16_f16 v[76:79], v[110:111], a[74:75], v[76:79]// 00000000929C: D3CD004C 1532956E
	ds_read_b128 a[96:99], v14 offset:4352                     // 0000000092A4: DBFE1100 6000000E
	ds_read_b128 a[100:103], v14 offset:4864                   // 0000000092AC: DBFE1300 6400000E
	v_mfma_f32_16x16x16_f16 v[76:79], v[112:113], a[76:77], v[76:79]// 0000000092B4: D3CD004C 15329970
	v_fma_f32 v58, v58, s57, -v142                             // 0000000092BC: D1CB003A 8638733A
	v_fma_f32 v59, v59, s57, -v143                             // 0000000092C4: D1CB003B 863C733B
	v_fma_f32 v60, v60, s57, -v140                             // 0000000092CC: D1CB003C 8630733C
	v_fma_f32 v61, v61, s57, -v141                             // 0000000092D4: D1CB003D 8634733D
	v_fma_f32 v62, v62, s57, -v142                             // 0000000092DC: D1CB003E 8638733E
	v_fma_f32 v63, v63, s57, -v143                             // 0000000092E4: D1CB003F 863C733F
	v_mfma_f32_16x16x16_f16 v[76:79], v[114:115], a[78:79], v[76:79]// 0000000092EC: D3CD004C 15329D72
	v_fma_f32 v64, v64, s57, -v144                             // 0000000092F4: D1CB0040 86407340
	v_fma_f32 v65, v65, s57, -v145                             // 0000000092FC: D1CB0041 86447341
	v_fma_f32 v66, v66, s57, -v146                             // 000000009304: D1CB0042 86487342
	v_fma_f32 v67, v67, s57, -v147                             // 00000000930C: D1CB0043 864C7343
	v_fma_f32 v68, v68, s57, -v144                             // 000000009314: D1CB0044 86407344
	v_fma_f32 v69, v69, s57, -v145                             // 00000000931C: D1CB0045 86447345
	v_mfma_f32_16x16x16_f16 v[80:83], v[108:109], a[80:81], 0  // 000000009324: D3CD0050 1202A16C
	v_fma_f32 v70, v70, s57, -v146                             // 00000000932C: D1CB0046 86487346
	v_fma_f32 v71, v71, s57, -v147                             // 000000009334: D1CB0047 864C7347
	v_fma_f32 v72, v72, s57, -v144                             // 00000000933C: D1CB0048 86407348
	v_fma_f32 v73, v73, s57, -v145                             // 000000009344: D1CB0049 86447349
	v_fma_f32 v74, v74, s57, -v146                             // 00000000934C: D1CB004A 8648734A
	v_fma_f32 v75, v75, s57, -v147                             // 000000009354: D1CB004B 864C734B
	v_mfma_f32_16x16x16_f16 v[80:83], v[110:111], a[82:83], v[80:83]// 00000000935C: D3CD0050 1542A56E
	ds_read_b128 a[104:107], v14 offset:6528                   // 000000009364: DBFE1980 6800000E
	ds_read_b128 a[108:111], v14 offset:7040                   // 00000000936C: DBFE1B80 6C00000E
	v_mfma_f32_16x16x16_f16 v[80:83], v[112:113], a[84:85], v[80:83]// 000000009374: D3CD0050 1542A970
	v_exp_f32_e32 v52, v52                                     // 00000000937C: 7E684134
	v_exp_f32_e32 v53, v53                                     // 000000009380: 7E6A4135
	v_mfma_f32_16x16x16_f16 v[80:83], v[114:115], a[86:87], v[80:83]// 000000009384: D3CD0050 1542AD72
	v_exp_f32_e32 v54, v54                                     // 00000000938C: 7E6C4136
	v_exp_f32_e32 v55, v55                                     // 000000009390: 7E6E4137
	v_mfma_f32_16x16x16_f16 v[84:87], v[108:109], a[88:89], 0  // 000000009394: D3CD0054 1202B16C
	v_exp_f32_e32 v56, v56                                     // 00000000939C: 7E704138
	v_exp_f32_e32 v57, v57                                     // 0000000093A0: 7E724139
	v_mfma_f32_16x16x16_f16 v[84:87], v[110:111], a[90:91], v[84:87]// 0000000093A4: D3CD0054 1552B56E
	ds_read_b64 v[156:157], v21 offset:31232                   // 0000000093AC: D8EC7A00 9C000015
	ds_read_b64 v[158:159], v21 offset:33280                   // 0000000093B4: D8EC8200 9E000015
	v_mfma_f32_16x16x16_f16 v[84:87], v[112:113], a[92:93], v[84:87]// 0000000093BC: D3CD0054 1552B970
	v_exp_f32_e32 v58, v58                                     // 0000000093C4: 7E74413A
	v_exp_f32_e32 v59, v59                                     // 0000000093C8: 7E76413B
	v_mfma_f32_16x16x16_f16 v[84:87], v[114:115], a[94:95], v[84:87]// 0000000093CC: D3CD0054 1552BD72
	ds_read_b64 v[160:161], v21 offset:35328                   // 0000000093D4: D8EC8A00 A0000015
	ds_read_b64 v[162:163], v21 offset:37376                   // 0000000093DC: D8EC9200 A2000015
	v_mfma_f32_16x16x16_f16 v[88:91], v[116:117], a[72:73], 0  // 0000000093E4: D3CD0058 12029174
	v_exp_f32_e32 v60, v60                                     // 0000000093EC: 7E78413C
	v_exp_f32_e32 v61, v61                                     // 0000000093F0: 7E7A413D
	v_mfma_f32_16x16x16_f16 v[88:91], v[118:119], a[74:75], v[88:91]// 0000000093F4: D3CD0058 15629576
	v_exp_f32_e32 v62, v62                                     // 0000000093FC: 7E7C413E
	v_exp_f32_e32 v63, v63                                     // 000000009400: 7E7E413F
	v_mfma_f32_16x16x16_f16 v[88:91], v[120:121], a[76:77], v[88:91]// 000000009404: D3CD0058 15629978
	v_exp_f32_e32 v64, v64                                     // 00000000940C: 7E804140
	v_exp_f32_e32 v65, v65                                     // 000000009410: 7E824141
	v_mfma_f32_16x16x16_f16 v[88:91], v[122:123], a[78:79], v[88:91]// 000000009414: D3CD0058 15629D7A
	v_exp_f32_e32 v66, v66                                     // 00000000941C: 7E844142
	v_exp_f32_e32 v67, v67                                     // 000000009420: 7E864143
	v_mfma_f32_16x16x16_f16 v[92:95], v[116:117], a[80:81], 0  // 000000009424: D3CD005C 1202A174
	v_exp_f32_e32 v68, v68                                     // 00000000942C: 7E884144
	v_exp_f32_e32 v69, v69                                     // 000000009430: 7E8A4145
	v_mfma_f32_16x16x16_f16 v[92:95], v[118:119], a[82:83], v[92:95]// 000000009434: D3CD005C 1572A576
	v_exp_f32_e32 v70, v70                                     // 00000000943C: 7E8C4146
	v_exp_f32_e32 v71, v71                                     // 000000009440: 7E8E4147
	v_mfma_f32_16x16x16_f16 v[92:95], v[120:121], a[84:85], v[92:95]// 000000009444: D3CD005C 1572A978
	v_exp_f32_e32 v72, v72                                     // 00000000944C: 7E904148
	v_exp_f32_e32 v73, v73                                     // 000000009450: 7E924149
	v_mfma_f32_16x16x16_f16 v[92:95], v[122:123], a[86:87], v[92:95]// 000000009454: D3CD005C 1572AD7A
	v_exp_f32_e32 v74, v74                                     // 00000000945C: 7E94414A
	v_exp_f32_e32 v75, v75                                     // 000000009460: 7E96414B
	v_mfma_f32_16x16x16_f16 v[96:99], v[116:117], a[88:89], 0  // 000000009464: D3CD0060 1202B174
	v_cvt_pkrtz_f16_f32 v164, v52, v53                         // 00000000946C: D29600A4 00026B34
	v_cvt_pkrtz_f16_f32 v165, v54, v55                         // 000000009474: D29600A5 00026F36
	v_cvt_pkrtz_f16_f32 v166, v56, v57                         // 00000000947C: D29600A6 00027338
	v_cvt_pkrtz_f16_f32 v167, v58, v59                         // 000000009484: D29600A7 0002773A
	v_cvt_pkrtz_f16_f32 v168, v60, v61                         // 00000000948C: D29600A8 00027B3C
	v_cvt_pkrtz_f16_f32 v169, v62, v63                         // 000000009494: D29600A9 00027F3E
	v_mfma_f32_16x16x16_f16 v[96:99], v[118:119], a[90:91], v[96:99]// 00000000949C: D3CD0060 1582B576
	v_cvt_pkrtz_f16_f32 v170, v64, v65                         // 0000000094A4: D29600AA 00028340
	v_cvt_pkrtz_f16_f32 v171, v66, v67                         // 0000000094AC: D29600AB 00028742
	v_cvt_pkrtz_f16_f32 v172, v68, v69                         // 0000000094B4: D29600AC 00028B44
	v_cvt_pkrtz_f16_f32 v173, v70, v71                         // 0000000094BC: D29600AD 00028F46
	v_cvt_pkrtz_f16_f32 v174, v72, v73                         // 0000000094C4: D29600AE 00029348
	v_cvt_pkrtz_f16_f32 v175, v74, v75                         // 0000000094CC: D29600AF 0002974A
	v_mfma_f32_16x16x16_f16 v[96:99], v[120:121], a[92:93], v[96:99]// 0000000094D4: D3CD0060 1582B978
	v_add_u32_e32 v6, s66, v6                                  // 0000000094DC: 680C0C42
	v_add_u32_e32 v7, s66, v7                                  // 0000000094E0: 680E0E42
	v_add_u32_e32 v8, s66, v8                                  // 0000000094E4: 68101042
	v_add_u32_e32 v9, s66, v9                                  // 0000000094E8: 68121242
	v_mfma_f32_16x16x16_f16 v[96:99], v[122:123], a[94:95], v[96:99]// 0000000094EC: D3CD0060 1582BD7A
	s_waitcnt lgkmcnt(0)                                       // 0000000094F4: BF8CC07F
	s_barrier                                                  // 0000000094F8: BF8A0000
	v_mfma_f32_16x16x16_f16 v[180:183], v[124:125], v[164:165], v[180:183]// 0000000094FC: D3CD00B4 06D3497C
	v_subrev_f32_dpp v76, v176, v76 quad_perm:[0,0,0,0] row_mask:0xf bank_mask:0xf// 000000009504: 069898FA FF0000B0
	v_subrev_f32_dpp v77, v176, v77 quad_perm:[1,1,1,1] row_mask:0xf bank_mask:0xf// 00000000950C: 069A9AFA FF0055B0
	v_subrev_f32_dpp v78, v176, v78 quad_perm:[2,2,2,2] row_mask:0xf bank_mask:0xf// 000000009514: 069C9CFA FF00AAB0
	v_subrev_f32_dpp v79, v176, v79 quad_perm:[3,3,3,3] row_mask:0xf bank_mask:0xf// 00000000951C: 069E9EFA FF00FFB0
	v_subrev_f32_dpp v80, v176, v80 quad_perm:[0,0,0,0] row_mask:0xf bank_mask:0xf// 000000009524: 06A0A0FA FF0000B0
	v_subrev_f32_dpp v81, v176, v81 quad_perm:[1,1,1,1] row_mask:0xf bank_mask:0xf// 00000000952C: 06A2A2FA FF0055B0
	v_mfma_f32_16x16x16_f16 v[184:187], v[126:127], v[164:165], v[184:187]// 000000009534: D3CD00B8 06E3497E
	v_subrev_f32_dpp v82, v176, v82 quad_perm:[2,2,2,2] row_mask:0xf bank_mask:0xf// 00000000953C: 06A4A4FA FF00AAB0
	v_subrev_f32_dpp v83, v176, v83 quad_perm:[3,3,3,3] row_mask:0xf bank_mask:0xf// 000000009544: 06A6A6FA FF00FFB0
	v_subrev_f32_dpp v84, v176, v84 quad_perm:[0,0,0,0] row_mask:0xf bank_mask:0xf// 00000000954C: 06A8A8FA FF0000B0
	v_subrev_f32_dpp v85, v176, v85 quad_perm:[1,1,1,1] row_mask:0xf bank_mask:0xf// 000000009554: 06AAAAFA FF0055B0
	v_subrev_f32_dpp v86, v176, v86 quad_perm:[2,2,2,2] row_mask:0xf bank_mask:0xf// 00000000955C: 06ACACFA FF00AAB0
	v_subrev_f32_dpp v87, v176, v87 quad_perm:[3,3,3,3] row_mask:0xf bank_mask:0xf// 000000009564: 06AEAEFA FF00FFB0
	v_mfma_f32_16x16x16_f16 v[188:191], v[128:129], v[164:165], v[188:191]// 00000000956C: D3CD00BC 06F34980
	v_mul_f32_e32 v76, v52, v76                                // 000000009574: 0A989934
	v_mul_f32_e32 v77, v53, v77                                // 000000009578: 0A9A9B35
	v_mul_f32_e32 v78, v54, v78                                // 00000000957C: 0A9C9D36
	v_mul_f32_e32 v79, v55, v79                                // 000000009580: 0A9E9F37
	v_mul_f32_e32 v80, v56, v80                                // 000000009584: 0AA0A138
	v_mul_f32_e32 v81, v57, v81                                // 000000009588: 0AA2A339
	v_mfma_f32_16x16x16_f16 v[192:195], v[130:131], v[164:165], v[192:195]// 00000000958C: D3CD00C0 07034982
	v_mul_f32_e32 v82, v58, v82                                // 000000009594: 0AA4A53A
	v_mul_f32_e32 v83, v59, v83                                // 000000009598: 0AA6A73B
	v_mul_f32_e32 v84, v60, v84                                // 00000000959C: 0AA8A93C
	v_mul_f32_e32 v85, v61, v85                                // 0000000095A0: 0AAAAB3D
	v_mul_f32_e32 v86, v62, v86                                // 0000000095A4: 0AACAD3E
	v_mul_f32_e32 v87, v63, v87                                // 0000000095A8: 0AAEAF3F
	v_mfma_f32_16x16x16_f16 v[196:199], v[124:125], v[166:167], v[196:199]// 0000000095AC: D3CD00C4 07134D7C
	v_cvt_pkrtz_f16_f32 v76, v76, v77                          // 0000000095B4: D296004C 00029B4C
	v_cvt_pkrtz_f16_f32 v77, v78, v79                          // 0000000095BC: D296004D 00029F4E
	v_cvt_pkrtz_f16_f32 v78, v80, v81                          // 0000000095C4: D296004E 0002A350
	v_cvt_pkrtz_f16_f32 v79, v82, v83                          // 0000000095CC: D296004F 0002A752
	v_cvt_pkrtz_f16_f32 v80, v84, v85                          // 0000000095D4: D2960050 0002AB54
	v_cvt_pkrtz_f16_f32 v81, v86, v87                          // 0000000095DC: D2960051 0002AF56
	v_mfma_f32_16x16x16_f16 v[200:203], v[126:127], v[166:167], v[200:203]// 0000000095E4: D3CD00C8 07234D7E
	v_mov_b32_dpp v18, v76 quad_perm:[1,0,3,2] row_mask:0xf bank_mask:0xf// 0000000095EC: 7E2402FA FF00B14C
	v_perm_b32 v52, v18, v76, v17                              // 0000000095F4: D1ED0034 04469912
	v_mov_b32_dpp v18, v77 quad_perm:[1,0,3,2] row_mask:0xf bank_mask:0xf// 0000000095FC: 7E2402FA FF00B14D
	v_perm_b32 v53, v18, v77, v17                              // 000000009604: D1ED0035 04469B12
	v_mov_b32_dpp v18, v78 quad_perm:[1,0,3,2] row_mask:0xf bank_mask:0xf// 00000000960C: 7E2402FA FF00B14E
	v_perm_b32 v54, v18, v78, v17                              // 000000009614: D1ED0036 04469D12
	v_mfma_f32_16x16x16_f16 v[204:207], v[128:129], v[166:167], v[204:207]// 00000000961C: D3CD00CC 07334D80
	ds_write_b32 v20, v52 offset:17408                         // 000000009624: D81A4400 00003414
	ds_write_b32 v20, v53 offset:17952                         // 00000000962C: D81A4620 00003514
	v_mfma_f32_16x16x16_f16 v[208:211], v[130:131], v[166:167], v[208:211]// 000000009634: D3CD00D0 07434D82
	v_mov_b32_dpp v18, v79 quad_perm:[1,0,3,2] row_mask:0xf bank_mask:0xf// 00000000963C: 7E2402FA FF00B14F
	v_perm_b32 v55, v18, v79, v17                              // 000000009644: D1ED0037 04469F12
	v_mov_b32_dpp v18, v80 quad_perm:[1,0,3,2] row_mask:0xf bank_mask:0xf// 00000000964C: 7E2402FA FF00B150
	v_perm_b32 v56, v18, v80, v17                              // 000000009654: D1ED0038 0446A112
	v_mov_b32_dpp v18, v81 quad_perm:[1,0,3,2] row_mask:0xf bank_mask:0xf// 00000000965C: 7E2402FA FF00B151
	v_perm_b32 v57, v18, v81, v17                              // 000000009664: D1ED0039 0446A312
	v_mfma_f32_16x16x16_f16 v[212:215], v[124:125], v[168:169], v[212:215]// 00000000966C: D3CD00D4 0753517C
	ds_write_b32 v20, v54 offset:19712                         // 000000009674: D81A4D00 00003614
	ds_write_b32 v20, v55 offset:20256                         // 00000000967C: D81A4F20 00003714
	v_mfma_f32_16x16x16_f16 v[216:219], v[126:127], v[168:169], v[216:219]// 000000009684: D3CD00D8 0763517E
	v_subrev_f32_dpp v88, v177, v88 quad_perm:[0,0,0,0] row_mask:0xf bank_mask:0xf// 00000000968C: 06B0B0FA FF0000B1
	v_subrev_f32_dpp v89, v177, v89 quad_perm:[1,1,1,1] row_mask:0xf bank_mask:0xf// 000000009694: 06B2B2FA FF0055B1
	v_subrev_f32_dpp v90, v177, v90 quad_perm:[2,2,2,2] row_mask:0xf bank_mask:0xf// 00000000969C: 06B4B4FA FF00AAB1
	v_subrev_f32_dpp v91, v177, v91 quad_perm:[3,3,3,3] row_mask:0xf bank_mask:0xf// 0000000096A4: 06B6B6FA FF00FFB1
	v_subrev_f32_dpp v92, v177, v92 quad_perm:[0,0,0,0] row_mask:0xf bank_mask:0xf// 0000000096AC: 06B8B8FA FF0000B1
	v_subrev_f32_dpp v93, v177, v93 quad_perm:[1,1,1,1] row_mask:0xf bank_mask:0xf// 0000000096B4: 06BABAFA FF0055B1
	v_mfma_f32_16x16x16_f16 v[220:223], v[128:129], v[168:169], v[220:223]// 0000000096BC: D3CD00DC 07735180
	ds_write_b32 v20, v56 offset:22016                         // 0000000096C4: D81A5600 00003814
	ds_write_b32 v20, v57 offset:22560                         // 0000000096CC: D81A5820 00003914
	v_mfma_f32_16x16x16_f16 v[224:227], v[130:131], v[168:169], v[224:227]// 0000000096D4: D3CD00E0 07835182
	v_subrev_f32_dpp v94, v177, v94 quad_perm:[2,2,2,2] row_mask:0xf bank_mask:0xf// 0000000096DC: 06BCBCFA FF00AAB1
	v_subrev_f32_dpp v95, v177, v95 quad_perm:[3,3,3,3] row_mask:0xf bank_mask:0xf// 0000000096E4: 06BEBEFA FF00FFB1
	v_subrev_f32_dpp v96, v177, v96 quad_perm:[0,0,0,0] row_mask:0xf bank_mask:0xf// 0000000096EC: 06C0C0FA FF0000B1
	v_subrev_f32_dpp v97, v177, v97 quad_perm:[1,1,1,1] row_mask:0xf bank_mask:0xf// 0000000096F4: 06C2C2FA FF0055B1
	v_subrev_f32_dpp v98, v177, v98 quad_perm:[2,2,2,2] row_mask:0xf bank_mask:0xf// 0000000096FC: 06C4C4FA FF00AAB1
	v_subrev_f32_dpp v99, v177, v99 quad_perm:[3,3,3,3] row_mask:0xf bank_mask:0xf// 000000009704: 06C6C6FA FF00FFB1
	v_mfma_f32_16x16x16_f16 v[180:183], v[132:133], v[170:171], v[180:183]// 00000000970C: D3CD00B4 06D35584
	v_mul_f32_e32 v88, v64, v88                                // 000000009714: 0AB0B140
	v_mul_f32_e32 v89, v65, v89                                // 000000009718: 0AB2B341
	v_mul_f32_e32 v90, v66, v90                                // 00000000971C: 0AB4B542
	v_mul_f32_e32 v91, v67, v91                                // 000000009720: 0AB6B743
	v_mul_f32_e32 v92, v68, v92                                // 000000009724: 0AB8B944
	v_mul_f32_e32 v93, v69, v93                                // 000000009728: 0ABABB45
	v_mfma_f32_16x16x16_f16 v[184:187], v[134:135], v[170:171], v[184:187]// 00000000972C: D3CD00B8 06E35586
	v_mul_f32_e32 v94, v70, v94                                // 000000009734: 0ABCBD46
	v_mul_f32_e32 v95, v71, v95                                // 000000009738: 0ABEBF47
	v_mul_f32_e32 v96, v72, v96                                // 00000000973C: 0AC0C148
	v_mul_f32_e32 v97, v73, v97                                // 000000009740: 0AC2C349
	v_mul_f32_e32 v98, v74, v98                                // 000000009744: 0AC4C54A
	v_mul_f32_e32 v99, v75, v99                                // 000000009748: 0AC6C74B
	v_mfma_f32_16x16x16_f16 v[188:191], v[136:137], v[170:171], v[188:191]// 00000000974C: D3CD00BC 06F35588
	v_cvt_pkrtz_f16_f32 v82, v88, v89                          // 000000009754: D2960052 0002B358
	v_cvt_pkrtz_f16_f32 v83, v90, v91                          // 00000000975C: D2960053 0002B75A
	v_cvt_pkrtz_f16_f32 v84, v92, v93                          // 000000009764: D2960054 0002BB5C
	v_cvt_pkrtz_f16_f32 v85, v94, v95                          // 00000000976C: D2960055 0002BF5E
	v_cvt_pkrtz_f16_f32 v86, v96, v97                          // 000000009774: D2960056 0002C360
	v_cvt_pkrtz_f16_f32 v87, v98, v99                          // 00000000977C: D2960057 0002C762
	v_mfma_f32_16x16x16_f16 v[192:195], v[138:139], v[170:171], v[192:195]// 000000009784: D3CD00C0 0703558A
	v_mov_b32_dpp v18, v82 quad_perm:[1,0,3,2] row_mask:0xf bank_mask:0xf// 00000000978C: 7E2402FA FF00B152
	v_perm_b32 v58, v18, v82, v17                              // 000000009794: D1ED003A 0446A512
	v_mov_b32_dpp v18, v83 quad_perm:[1,0,3,2] row_mask:0xf bank_mask:0xf// 00000000979C: 7E2402FA FF00B153
	v_perm_b32 v59, v18, v83, v17                              // 0000000097A4: D1ED003B 0446A712
	v_mov_b32_dpp v18, v84 quad_perm:[1,0,3,2] row_mask:0xf bank_mask:0xf// 0000000097AC: 7E2402FA FF00B154
	v_perm_b32 v60, v18, v84, v17                              // 0000000097B4: D1ED003C 0446A912
	v_mfma_f32_16x16x16_f16 v[196:199], v[132:133], v[172:173], v[196:199]// 0000000097BC: D3CD00C4 07135984
	ds_write_b32 v20, v58 offset:24320                         // 0000000097C4: D81A5F00 00003A14
	ds_write_b32 v20, v59 offset:24864                         // 0000000097CC: D81A6120 00003B14
	v_mfma_f32_16x16x16_f16 v[200:203], v[134:135], v[172:173], v[200:203]// 0000000097D4: D3CD00C8 07235986
	v_mov_b32_dpp v18, v85 quad_perm:[1,0,3,2] row_mask:0xf bank_mask:0xf// 0000000097DC: 7E2402FA FF00B155
	v_perm_b32 v61, v18, v85, v17                              // 0000000097E4: D1ED003D 0446AB12
	v_mov_b32_dpp v18, v86 quad_perm:[1,0,3,2] row_mask:0xf bank_mask:0xf// 0000000097EC: 7E2402FA FF00B156
	v_perm_b32 v62, v18, v86, v17                              // 0000000097F4: D1ED003E 0446AD12
	v_mov_b32_dpp v18, v87 quad_perm:[1,0,3,2] row_mask:0xf bank_mask:0xf// 0000000097FC: 7E2402FA FF00B157
	v_perm_b32 v63, v18, v87, v17                              // 000000009804: D1ED003F 0446AF12
	v_mfma_f32_16x16x16_f16 v[204:207], v[136:137], v[172:173], v[204:207]// 00000000980C: D3CD00CC 07335988
	ds_write_b32 v20, v60 offset:26624                         // 000000009814: D81A6800 00003C14
	ds_write_b32 v20, v61 offset:27168                         // 00000000981C: D81A6A20 00003D14
	ds_write_b32 v20, v62 offset:28928                         // 000000009824: D81A7100 00003E14
	ds_write_b32 v20, v63 offset:29472                         // 00000000982C: D81A7320 00003F14
	v_mfma_f32_16x16x16_f16 v[208:211], v[138:139], v[172:173], v[208:211]// 000000009834: D3CD00D0 0743598A
	v_mfma_f32_16x16x16_f16 v[212:215], v[132:133], v[174:175], v[212:215]// 00000000983C: D3CD00D4 07535D84
	ds_write_b32 v15, v100 offset:4352                         // 000000009844: D81A1100 0000640F
	ds_write_b32 v15, v101 offset:5408                         // 00000000984C: D81A1520 0000650F
	v_mfma_f32_16x16x16_f16 v[216:219], v[134:135], v[174:175], v[216:219]// 000000009854: D3CD00D8 07635D86
	v_mfma_f32_16x16x16_f16 v[220:223], v[136:137], v[174:175], v[220:223]// 00000000985C: D3CD00DC 07735D88
	ds_write_b32 v15, v102 offset:6528                         // 000000009864: D81A1980 0000660F
	ds_write_b32 v15, v103 offset:7584                         // 00000000986C: D81A1DA0 0000670F
	v_mfma_f32_16x16x16_f16 v[224:227], v[138:139], v[174:175], v[224:227]// 000000009874: D3CD00E0 07835D8A
	s_nop 0                                                    // 00000000987C: BF800000
	s_nop 0                                                    // 000000009880: BF800000
	s_nop 0                                                    // 000000009884: BF800000
	s_barrier                                                  // 000000009888: BF8A0000
	v_mfma_f32_16x16x16_f16 a[112:115], a[96:97], v[76:77], a[112:115]// 00000000988C: D3CD8070 0DC29960
	ds_read_b32 v140, v23 offset:39424                         // 000000009894: D86C9A00 8C000017
	ds_read_b32 v144, v23 offset:39488                         // 00000000989C: D86C9A40 90000017
	ds_read_b32 v176, v23 offset:39680                         // 0000000098A4: D86C9B00 B0000017
	ds_read_b32 v177, v23 offset:39744                         // 0000000098AC: D86C9B40 B1000017
	v_mfma_f32_16x16x16_f16 a[116:119], a[98:99], v[76:77], a[116:119]// 0000000098B4: D3CD8074 0DD29962
	buffer_atomic_add_f32 v156, v6, s[32:35], 0 idxen          // 0000000098BC: E1342000 80089C06
	v_mfma_f32_16x16x16_f16 a[120:123], a[100:101], v[76:77], a[120:123]// 0000000098C4: D3CD8078 0DE29964
	s_waitcnt lgkmcnt(8)                                       // 0000000098CC: BF8CC87F
	s_barrier                                                  // 0000000098D0: BF8A0000
	v_mfma_f32_16x16x16_f16 a[124:127], a[102:103], v[76:77], a[124:127]// 0000000098D4: D3CD807C 0DF29966
	v_mfma_f32_16x16x16_f16 a[128:131], a[96:97], v[78:79], a[128:131]// 0000000098DC: D3CD8080 0E029D60
	ds_read_b128 v[52:55], v19 offset:17408                    // 0000000098E4: D9FE4400 34000013
	v_mfma_f32_16x16x16_f16 a[132:135], a[98:99], v[78:79], a[132:135]// 0000000098EC: D3CD8084 0E129D62
	v_mfma_f32_16x16x16_f16 a[136:139], a[100:101], v[78:79], a[136:139]// 0000000098F4: D3CD8088 0E229D64
	ds_read_b128 v[56:59], v19 offset:18560                    // 0000000098FC: D9FE4880 38000013
	v_mfma_f32_16x16x16_f16 a[140:143], a[102:103], v[78:79], a[140:143]// 000000009904: D3CD808C 0E329D66
	buffer_atomic_add_f32 v157, v7, s[32:35], 0 idxen          // 00000000990C: E1342000 80089D07
	v_mfma_f32_16x16x16_f16 a[144:147], a[96:97], v[80:81], a[144:147]// 000000009914: D3CD8090 0E42A160
	ds_read_b128 v[60:63], v19 offset:19712                    // 00000000991C: D9FE4D00 3C000013
	v_mfma_f32_16x16x16_f16 a[148:151], a[98:99], v[80:81], a[148:151]// 000000009924: D3CD8094 0E52A162
	v_mfma_f32_16x16x16_f16 a[152:155], a[100:101], v[80:81], a[152:155]// 00000000992C: D3CD8098 0E62A164
	ds_read_b128 v[64:67], v19 offset:20864                    // 000000009934: D9FE5180 40000013
	v_mfma_f32_16x16x16_f16 a[156:159], a[102:103], v[80:81], a[156:159]// 00000000993C: D3CD809C 0E72A166
	v_mfma_f32_16x16x16_f16 a[112:115], a[104:105], v[82:83], a[112:115]// 000000009944: D3CD8070 0DC2A568
	ds_read_b128 v[68:71], v19 offset:22016                    // 00000000994C: D9FE5600 44000013
	v_mfma_f32_16x16x16_f16 a[116:119], a[106:107], v[82:83], a[116:119]// 000000009954: D3CD8074 0DD2A56A
	buffer_atomic_add_f32 v158, v6, s[32:35], 0 idxen offset:128// 00000000995C: E1342080 80089E06
	v_mfma_f32_16x16x16_f16 a[120:123], a[108:109], v[82:83], a[120:123]// 000000009964: D3CD8078 0DE2A56C
	ds_read_b128 v[72:75], v19 offset:23168                    // 00000000996C: D9FE5A80 48000013
	v_mfma_f32_16x16x16_f16 a[124:127], a[110:111], v[82:83], a[124:127]// 000000009974: D3CD807C 0DF2A56E
	v_mfma_f32_16x16x16_f16 a[128:131], a[104:105], v[84:85], a[128:131]// 00000000997C: D3CD8080 0E02A968
	ds_write_b32 v15, v104 offset:13056                        // 000000009984: D81A3300 0000680F
	v_mfma_f32_16x16x16_f16 a[132:135], a[106:107], v[84:85], a[132:135]// 00000000998C: D3CD8084 0E12A96A
	v_mfma_f32_16x16x16_f16 a[136:139], a[108:109], v[84:85], a[136:139]// 000000009994: D3CD8088 0E22A96C
	ds_write_b32 v15, v105 offset:14112                        // 00000000999C: D81A3720 0000690F
	v_mfma_f32_16x16x16_f16 a[140:143], a[110:111], v[84:85], a[140:143]// 0000000099A4: D3CD808C 0E32A96E
	buffer_atomic_add_f32 v159, v7, s[32:35], 0 idxen offset:128// 0000000099AC: E1342080 80089F07
	v_mfma_f32_16x16x16_f16 a[144:147], a[104:105], v[86:87], a[144:147]// 0000000099B4: D3CD8090 0E42AD68
	ds_write_b32 v15, v106 offset:15232                        // 0000000099BC: D81A3B80 00006A0F
	v_mfma_f32_16x16x16_f16 a[148:151], a[106:107], v[86:87], a[148:151]// 0000000099C4: D3CD8094 0E52AD6A
	v_mfma_f32_16x16x16_f16 a[152:155], a[108:109], v[86:87], a[152:155]// 0000000099CC: D3CD8098 0E62AD6C
	ds_write_b32 v15, v107 offset:16288                        // 0000000099D4: D81A3FA0 00006B0F
	v_mfma_f32_16x16x16_f16 a[156:159], a[110:111], v[86:87], a[156:159]// 0000000099DC: D3CD809C 0E72AD6E
	s_waitcnt vmcnt(8) lgkmcnt(4)                              // 0000000099E4: BF8C0478
	s_barrier                                                  // 0000000099E8: BF8A0000
	v_mfma_f32_16x16x16_f16 v[148:151], v[52:53], a[24:25], 0  // 0000000099EC: D3CD0094 12023134
	ds_read_b128 a[96:99], v12                                 // 0000000099F4: DBFE0000 6000000C
	buffer_load_dword v36, v1, s[8:11], 0 idxen                // 0000000099FC: E0502000 80022401
	v_mfma_f32_16x16x16_f16 v[148:151], v[54:55], a[28:29], v[148:151]// 000000009A04: D3CD0094 16523936
	v_mul_f32_e32 v140, s48, v140                              // 000000009A0C: 0B191830
	v_mul_f32_e32 v144, s48, v144                              // 000000009A10: 0B212030
	s_nop 0                                                    // 000000009A14: BF800000
	v_mfma_f32_16x16x16_f16 v[148:151], v[56:57], a[32:33], v[148:151]// 000000009A18: D3CD0094 16524138
	ds_read_b128 a[100:103], v12 offset:512                    // 000000009A20: DBFE0200 6400000C
	buffer_load_dword v37, v2, s[8:11], 0 idxen                // 000000009A28: E0502000 80022502
	v_mfma_f32_16x16x16_f16 v[148:151], v[58:59], a[36:37], v[148:151]// 000000009A30: D3CD0094 1652493A
	v_mfma_f32_16x16x16_f16 v[148:151], v[60:61], a[40:41], v[148:151]// 000000009A38: D3CD0094 1652513C
	ds_read_b128 a[104:107], v12 offset:2176                   // 000000009A40: DBFE0880 6800000C
	buffer_load_dword v38, v3, s[8:11], 0 idxen                // 000000009A48: E0502000 80022603
	v_mfma_f32_16x16x16_f16 v[148:151], v[62:63], a[44:45], v[148:151]// 000000009A50: D3CD0094 1652593E
	v_perm_b32 v100, v41, v40, s63                             // 000000009A58: D1ED0064 00FE5129
	v_perm_b32 v101, v41, v40, s64                             // 000000009A60: D1ED0065 01025129
	v_mfma_f32_16x16x16_f16 v[148:151], v[64:65], a[48:49], v[148:151]// 000000009A68: D3CD0094 16526140
	ds_read_b128 a[108:111], v12 offset:2688                   // 000000009A70: DBFE0A80 6C00000C
	buffer_load_dword v39, v4, s[8:11], 0 idxen                // 000000009A78: E0502000 80022704
	v_mfma_f32_16x16x16_f16 v[148:151], v[66:67], a[52:53], v[148:151]// 000000009A80: D3CD0094 16526942
	v_perm_b32 v102, v43, v42, s63                             // 000000009A88: D1ED0066 00FE552B
	v_perm_b32 v103, v43, v42, s64                             // 000000009A90: D1ED0067 0102552B
	v_mfma_f32_16x16x16_f16 v[148:151], v[68:69], a[56:57], v[148:151]// 000000009A98: D3CD0094 16527144
	ds_read_b128 v[108:111], v12 offset:8704                   // 000000009AA0: D9FE2200 6C00000C
	buffer_load_dword v44, v228, s[20:23], 0 idxen             // 000000009AA8: E0502000 80052CE4
	v_mfma_f32_16x16x16_f16 v[148:151], v[70:71], a[60:61], v[148:151]// 000000009AB0: D3CD0094 16527946
	v_perm_b32 v104, v49, v48, s63                             // 000000009AB8: D1ED0068 00FE6131
	v_perm_b32 v105, v49, v48, s64                             // 000000009AC0: D1ED0069 01026131
	v_mfma_f32_16x16x16_f16 v[148:151], v[72:73], a[64:65], v[148:151]// 000000009AC8: D3CD0094 16528148
	ds_read_b128 v[112:115], v12 offset:9216                   // 000000009AD0: D9FE2400 7000000C
	buffer_load_dword v45, v229, s[20:23], 0 idxen             // 000000009AD8: E0502000 80052DE5
	v_mfma_f32_16x16x16_f16 v[148:151], v[74:75], a[68:69], v[148:151]// 000000009AE0: D3CD0094 1652894A
	v_perm_b32 v106, v51, v50, s63                             // 000000009AE8: D1ED006A 00FE6533
	v_perm_b32 v107, v51, v50, s64                             // 000000009AF0: D1ED006B 01026533
	v_mfma_f32_16x16x16_f16 v[152:155], v[52:53], a[26:27], 0  // 000000009AF8: D3CD0098 12023534
	ds_read_b128 v[116:119], v12 offset:10880                  // 000000009B00: D9FE2A80 7400000C
	buffer_load_dword v46, v230, s[20:23], 0 idxen             // 000000009B08: E0502000 80052EE6
	v_mfma_f32_16x16x16_f16 v[152:155], v[54:55], a[30:31], v[152:155]// 000000009B10: D3CD0098 16623D36
	v_mov_b32_dpp v143, v140 quad_perm:[3,3,3,3] row_mask:0xf bank_mask:0xf// 000000009B18: 7F1E02FA FF00FF8C
	v_mov_b32_dpp v142, v140 quad_perm:[2,2,2,2] row_mask:0xf bank_mask:0xf// 000000009B20: 7F1C02FA FF00AA8C
	v_mov_b32_dpp v141, v140 quad_perm:[1,1,1,1] row_mask:0xf bank_mask:0xf// 000000009B28: 7F1A02FA FF00558C
	v_mov_b32_dpp v140, v140 quad_perm:[0,0,0,0] row_mask:0xf bank_mask:0xf// 000000009B30: 7F1802FA FF00008C
	v_mfma_f32_16x16x16_f16 v[152:155], v[56:57], a[34:35], v[152:155]// 000000009B38: D3CD0098 16624538
	ds_read_b128 v[120:123], v12 offset:11392                  // 000000009B40: D9FE2C80 7800000C
	buffer_load_dword v47, v231, s[20:23], 0 idxen             // 000000009B48: E0502000 80052FE7
	v_mfma_f32_16x16x16_f16 v[152:155], v[58:59], a[38:39], v[152:155]// 000000009B50: D3CD0098 16624D3A
	v_mov_b32_dpp v147, v144 quad_perm:[3,3,3,3] row_mask:0xf bank_mask:0xf// 000000009B58: 7F2602FA FF00FF90
	v_mov_b32_dpp v146, v144 quad_perm:[2,2,2,2] row_mask:0xf bank_mask:0xf// 000000009B60: 7F2402FA FF00AA90
	v_mov_b32_dpp v145, v144 quad_perm:[1,1,1,1] row_mask:0xf bank_mask:0xf// 000000009B68: 7F2202FA FF005590
	v_mov_b32_dpp v144, v144 quad_perm:[0,0,0,0] row_mask:0xf bank_mask:0xf// 000000009B70: 7F2002FA FF000090
	s_add_u32 s60, 0x80, s59                                   // 000000009B78: 803C3BFF 00000080
	v_mfma_f32_16x16x16_f16 v[152:155], v[60:61], a[42:43], v[152:155]// 000000009B80: D3CD0098 1662553C
	buffer_load_dword v11, s[24:27], 0 idxen lds               // 000000009B88: E0512000 8006000B
	v_mfma_f32_16x16x16_f16 v[152:155], v[62:63], a[46:47], v[152:155]// 000000009B90: D3CD0098 16625D3E
	s_cmp_lt_u32 s60, s58                                      // 000000009B98: BF0A3A3C
	s_cselect_b32 s68, s68, 0                                  // 000000009B9C: 85448044
	s_cselect_b32 s100, s100, 0                                // 000000009BA0: 85648064
	s_cselect_b32 s69, s69, 0                                  // 000000009BA4: 85458045
	v_mfma_f32_16x16x16_f16 v[152:155], v[64:65], a[50:51], v[152:155]// 000000009BA8: D3CD0098 16626540
	v_add_u32_e32 v1, s68, v1                                  // 000000009BB0: 68020244
	v_add_u32_e32 v2, s68, v2                                  // 000000009BB4: 68040444
	v_add_u32_e32 v3, s68, v3                                  // 000000009BB8: 68060644
	v_add_u32_e32 v4, s68, v4                                  // 000000009BBC: 68080844
	v_mfma_f32_16x16x16_f16 v[152:155], v[66:67], a[54:55], v[152:155]// 000000009BC0: D3CD0098 16626D42
	v_add_u32_e32 v228, s100, v228                             // 000000009BC8: 69C9C864
	v_add_u32_e32 v229, s100, v229                             // 000000009BCC: 69CBCA64
	v_add_u32_e32 v230, s100, v230                             // 000000009BD0: 69CDCC64
	v_add_u32_e32 v231, s100, v231                             // 000000009BD4: 69CFCE64
	v_mfma_f32_16x16x16_f16 v[152:155], v[68:69], a[58:59], v[152:155]// 000000009BD8: D3CD0098 16627544
	s_mov_b32 m0, s79                                          // 000000009BE0: BEFC004F
	v_add_u32_e32 v11, s69, v11                                // 000000009BE4: 68161645
	v_mfma_f32_16x16x16_f16 v[152:155], v[70:71], a[62:63], v[152:155]// 000000009BE8: D3CD0098 16627D46
	s_cmp_ge_u32 s59, s73                                      // 000000009BF0: BF09493B
	s_cselect_b32 s66, s67, s66                                // 000000009BF4: 85424243
	v_mfma_f32_16x16x16_f16 v[152:155], v[72:73], a[66:67], v[152:155]// 000000009BF8: D3CD0098 16628548
	s_addk_i32 s59, 0x20                                       // 000000009C00: B73B0020
	s_nop 0                                                    // 000000009C04: BF800000
	s_cmp_lt_i32 s59, s58                                      // 000000009C08: BF043A3B
	v_mfma_f32_16x16x16_f16 v[152:155], v[74:75], a[70:71], v[152:155]// 000000009C0C: D3CD0098 16628D4A
	s_cbranch_scc0 label_0EC1                                  // 000000009C14: BF84F7A9
	s_branch label_0EC4                                        // 000000009C18: BF82F7AB

0000000000009c1c <label_172B>:
	buffer_atomic_add_f32 v160, v8, s[32:35], 0 idxen          // 000000009C1C: E1342000 8008A008
	buffer_atomic_add_f32 v161, v9, s[32:35], 0 idxen          // 000000009C24: E1342000 8008A109
	buffer_atomic_add_f32 v162, v8, s[32:35], 0 idxen offset:128// 000000009C2C: E1342080 8008A208
	buffer_atomic_add_f32 v163, v9, s[32:35], 0 idxen offset:128// 000000009C34: E1342080 8008A309
	v_add_u32_e32 v6, s66, v6                                  // 000000009C3C: 680C0C42
	v_add_u32_e32 v7, s66, v7                                  // 000000009C40: 680E0E42
	v_add_u32_e32 v8, s66, v8                                  // 000000009C44: 68101042
	v_add_u32_e32 v9, s66, v9                                  // 000000009C48: 68121242
	v_lshrrev_b32_e32 v32, 5, v0                               // 000000009C4C: 20400085
	v_mul_i32_i24_e32 v27, 0x44, v32                           // 000000009C50: 0C3640FF 00000044
	v_and_b32_e32 v32, 31, v0                                  // 000000009C58: 2640009F
	v_mul_i32_i24_e32 v33, 2, v32                              // 000000009C5C: 0C424082
	v_add_u32_e32 v27, v33, v27                                // 000000009C60: 68363721
	s_mul_i32 s60, s46, 0x220                                  // 000000009C64: 923CFF2E 00000220
	v_add_u32_e32 v27, s60, v27                                // 000000009C6C: 6836363C
	v_lshlrev_b32_e32 v27, 2, v27                              // 000000009C70: 24363682
	v_mul_f32_e32 v148, s47, v148                              // 000000009C74: 0B29282F
	v_mul_f32_e32 v149, s47, v149                              // 000000009C78: 0B2B2A2F
	v_mul_f32_e32 v150, s47, v150                              // 000000009C7C: 0B2D2C2F
	v_mul_f32_e32 v151, s47, v151                              // 000000009C80: 0B2F2E2F
	v_mul_f32_e32 v152, s47, v152                              // 000000009C84: 0B31302F
	v_mul_f32_e32 v153, s47, v153                              // 000000009C88: 0B33322F
	v_mul_f32_e32 v154, s47, v154                              // 000000009C8C: 0B35342F
	v_mul_f32_e32 v155, s47, v155                              // 000000009C90: 0B37362F
	ds_write_b64 v22, v[148:149] offset:31232                  // 000000009C94: D89A7A00 00009416
	ds_write_b64 v22, v[150:151] offset:31744                  // 000000009C9C: D89A7C00 00009616
	ds_write_b64 v22, v[152:153] offset:32256                  // 000000009CA4: D89A7E00 00009816
	ds_write_b64 v22, v[154:155] offset:32768                  // 000000009CAC: D89A8000 00009A16
	s_waitcnt lgkmcnt(0)                                       // 000000009CB4: BF8CC07F
	s_barrier                                                  // 000000009CB8: BF8A0000
	ds_read_b64 v[156:157], v21 offset:31232                   // 000000009CBC: D8EC7A00 9C000015
	ds_read_b64 v[158:159], v21 offset:33280                   // 000000009CC4: D8EC8200 9E000015
	ds_read_b64 v[160:161], v21 offset:35328                   // 000000009CCC: D8EC8A00 A0000015
	ds_read_b64 v[162:163], v21 offset:37376                   // 000000009CD4: D8EC9200 A2000015
	s_waitcnt lgkmcnt(0)                                       // 000000009CDC: BF8CC07F
	s_barrier                                                  // 000000009CE0: BF8A0000
	buffer_atomic_add_f32 v156, v6, s[32:35], 0 idxen          // 000000009CE4: E1342000 80089C06
	buffer_atomic_add_f32 v157, v7, s[32:35], 0 idxen          // 000000009CEC: E1342000 80089D07
	buffer_atomic_add_f32 v158, v6, s[32:35], 0 idxen offset:128// 000000009CF4: E1342080 80089E06
	buffer_atomic_add_f32 v159, v7, s[32:35], 0 idxen offset:128// 000000009CFC: E1342080 80089F07
	buffer_atomic_add_f32 v160, v8, s[32:35], 0 idxen          // 000000009D04: E1342000 8008A008
	buffer_atomic_add_f32 v161, v9, s[32:35], 0 idxen          // 000000009D0C: E1342000 8008A109
	buffer_atomic_add_f32 v162, v8, s[32:35], 0 idxen offset:128// 000000009D14: E1342080 8008A208
	buffer_atomic_add_f32 v163, v9, s[32:35], 0 idxen offset:128// 000000009D1C: E1342080 8008A309
	v_lshrrev_b32_e32 v32, 3, v0                               // 000000009D24: 20400083
	v_mul_i32_i24_e32 v26, 2, v32                              // 000000009D28: 0C344082
	v_and_b32_e32 v32, 7, v0                                   // 000000009D2C: 26400087
	v_mul_i32_i24_e32 v33, 0x44, v32                           // 000000009D30: 0C4240FF 00000044
	v_add_u32_e32 v26, v33, v26                                // 000000009D38: 68343521
	s_mul_i32 s60, s46, 0x220                                  // 000000009D3C: 923CFF2E 00000220
	v_add_u32_e32 v26, s60, v26                                // 000000009D44: 6834343C
	v_lshlrev_b32_e32 v26, 2, v26                              // 000000009D48: 24343482
	v_accvgpr_read_b32 v32, a112                               // 000000009D4C: D3D84020 18000170
	v_accvgpr_read_b32 v33, a113                               // 000000009D54: D3D84021 18000171
	v_mul_f32_e32 v32, s47, v32                                // 000000009D5C: 0A40402F
	v_mul_f32_e32 v33, s47, v33                                // 000000009D60: 0A42422F
	v_cvt_pkrtz_f16_f32 v52, v32, v33                          // 000000009D64: D2960034 00024320
	v_accvgpr_read_b32 v32, a114                               // 000000009D6C: D3D84020 18000172
	v_accvgpr_read_b32 v33, a115                               // 000000009D74: D3D84021 18000173
	v_mul_f32_e32 v32, s47, v32                                // 000000009D7C: 0A40402F
	v_mul_f32_e32 v33, s47, v33                                // 000000009D80: 0A42422F
	v_cvt_pkrtz_f16_f32 v53, v32, v33                          // 000000009D84: D2960035 00024320
	v_accvgpr_read_b32 v32, a116                               // 000000009D8C: D3D84020 18000174
	v_accvgpr_read_b32 v33, a117                               // 000000009D94: D3D84021 18000175
	v_mul_f32_e32 v32, s47, v32                                // 000000009D9C: 0A40402F
	v_mul_f32_e32 v33, s47, v33                                // 000000009DA0: 0A42422F
	v_cvt_pkrtz_f16_f32 v54, v32, v33                          // 000000009DA4: D2960036 00024320
	v_accvgpr_read_b32 v32, a118                               // 000000009DAC: D3D84020 18000176
	v_accvgpr_read_b32 v33, a119                               // 000000009DB4: D3D84021 18000177
	v_mul_f32_e32 v32, s47, v32                                // 000000009DBC: 0A40402F
	v_mul_f32_e32 v33, s47, v33                                // 000000009DC0: 0A42422F
	v_cvt_pkrtz_f16_f32 v55, v32, v33                          // 000000009DC4: D2960037 00024320
	v_accvgpr_read_b32 v32, a120                               // 000000009DCC: D3D84020 18000178
	v_accvgpr_read_b32 v33, a121                               // 000000009DD4: D3D84021 18000179
	v_mul_f32_e32 v32, s47, v32                                // 000000009DDC: 0A40402F
	v_mul_f32_e32 v33, s47, v33                                // 000000009DE0: 0A42422F
	v_cvt_pkrtz_f16_f32 v56, v32, v33                          // 000000009DE4: D2960038 00024320
	v_accvgpr_read_b32 v32, a122                               // 000000009DEC: D3D84020 1800017A
	v_accvgpr_read_b32 v33, a123                               // 000000009DF4: D3D84021 1800017B
	v_mul_f32_e32 v32, s47, v32                                // 000000009DFC: 0A40402F
	v_mul_f32_e32 v33, s47, v33                                // 000000009E00: 0A42422F
	v_cvt_pkrtz_f16_f32 v57, v32, v33                          // 000000009E04: D2960039 00024320
	v_accvgpr_read_b32 v32, a124                               // 000000009E0C: D3D84020 1800017C
	v_accvgpr_read_b32 v33, a125                               // 000000009E14: D3D84021 1800017D
	v_mul_f32_e32 v32, s47, v32                                // 000000009E1C: 0A40402F
	v_mul_f32_e32 v33, s47, v33                                // 000000009E20: 0A42422F
	v_cvt_pkrtz_f16_f32 v58, v32, v33                          // 000000009E24: D296003A 00024320
	v_accvgpr_read_b32 v32, a126                               // 000000009E2C: D3D84020 1800017E
	v_accvgpr_read_b32 v33, a127                               // 000000009E34: D3D84021 1800017F
	v_mul_f32_e32 v32, s47, v32                                // 000000009E3C: 0A40402F
	v_mul_f32_e32 v33, s47, v33                                // 000000009E40: 0A42422F
	v_cvt_pkrtz_f16_f32 v59, v32, v33                          // 000000009E44: D296003B 00024320
	ds_write_b64 v27, v[52:53]                                 // 000000009E4C: D89A0000 0000341B
	ds_write_b64 v27, v[54:55] offset:544                      // 000000009E54: D89A0220 0000361B
	ds_write_b64 v27, v[56:57] offset:1088                     // 000000009E5C: D89A0440 0000381B
	ds_write_b64 v27, v[58:59] offset:1632                     // 000000009E64: D89A0660 00003A1B
	s_waitcnt lgkmcnt(0)                                       // 000000009E6C: BF8CC07F
	s_barrier                                                  // 000000009E70: BF8A0000
	ds_read_b64 v[52:53], v26                                  // 000000009E74: D8EC0000 3400001A
	ds_read_b64 v[54:55], v26 offset:128                       // 000000009E7C: D8EC0080 3600001A
	ds_read_b64 v[56:57], v26 offset:64                        // 000000009E84: D8EC0040 3800001A
	ds_read_b64 v[58:59], v26 offset:192                       // 000000009E8C: D8EC00C0 3A00001A
	s_waitcnt lgkmcnt(0)                                       // 000000009E94: BF8CC07F
	s_mov_b32 s70, s52                                         // 000000009E98: BEC60034
	buffer_store_dwordx4 v[52:55], v5, s[36:39], 0 idxen       // 000000009E9C: E07C2000 80093405
	s_mul_i32 s60, 2, s70                                      // 000000009EA4: 923C4682
	v_add_u32_e32 v5, s60, v5                                  // 000000009EA8: 680A0A3C
	buffer_store_dwordx4 v[56:59], v5, s[36:39], 0 idxen       // 000000009EAC: E07C2000 80093805
	s_mul_i32 s60, 2, s70                                      // 000000009EB4: 923C4682
	v_add_u32_e32 v5, s60, v5                                  // 000000009EB8: 680A0A3C
	s_mul_i32 s60, 12, s70                                     // 000000009EBC: 923C468C
	v_add_u32_e32 v5, s60, v5                                  // 000000009EC0: 680A0A3C
	s_barrier                                                  // 000000009EC4: BF8A0000
	s_cmp_ge_i32 1, s72                                        // 000000009EC8: BF034881
	s_cbranch_scc1 label_189A                                  // 000000009ECC: BF8500C2
	v_accvgpr_read_b32 v32, a128                               // 000000009ED0: D3D84020 18000180
	v_accvgpr_read_b32 v33, a129                               // 000000009ED8: D3D84021 18000181
	v_mul_f32_e32 v32, s47, v32                                // 000000009EE0: 0A40402F
	v_mul_f32_e32 v33, s47, v33                                // 000000009EE4: 0A42422F
	v_cvt_pkrtz_f16_f32 v60, v32, v33                          // 000000009EE8: D296003C 00024320
	v_accvgpr_read_b32 v32, a130                               // 000000009EF0: D3D84020 18000182
	v_accvgpr_read_b32 v33, a131                               // 000000009EF8: D3D84021 18000183
	v_mul_f32_e32 v32, s47, v32                                // 000000009F00: 0A40402F
	v_mul_f32_e32 v33, s47, v33                                // 000000009F04: 0A42422F
	v_cvt_pkrtz_f16_f32 v61, v32, v33                          // 000000009F08: D296003D 00024320
	v_accvgpr_read_b32 v32, a132                               // 000000009F10: D3D84020 18000184
	v_accvgpr_read_b32 v33, a133                               // 000000009F18: D3D84021 18000185
	v_mul_f32_e32 v32, s47, v32                                // 000000009F20: 0A40402F
	v_mul_f32_e32 v33, s47, v33                                // 000000009F24: 0A42422F
	v_cvt_pkrtz_f16_f32 v62, v32, v33                          // 000000009F28: D296003E 00024320
	v_accvgpr_read_b32 v32, a134                               // 000000009F30: D3D84020 18000186
	v_accvgpr_read_b32 v33, a135                               // 000000009F38: D3D84021 18000187
	v_mul_f32_e32 v32, s47, v32                                // 000000009F40: 0A40402F
	v_mul_f32_e32 v33, s47, v33                                // 000000009F44: 0A42422F
	v_cvt_pkrtz_f16_f32 v63, v32, v33                          // 000000009F48: D296003F 00024320
	v_accvgpr_read_b32 v32, a136                               // 000000009F50: D3D84020 18000188
	v_accvgpr_read_b32 v33, a137                               // 000000009F58: D3D84021 18000189
	v_mul_f32_e32 v32, s47, v32                                // 000000009F60: 0A40402F
	v_mul_f32_e32 v33, s47, v33                                // 000000009F64: 0A42422F
	v_cvt_pkrtz_f16_f32 v64, v32, v33                          // 000000009F68: D2960040 00024320
	v_accvgpr_read_b32 v32, a138                               // 000000009F70: D3D84020 1800018A
	v_accvgpr_read_b32 v33, a139                               // 000000009F78: D3D84021 1800018B
	v_mul_f32_e32 v32, s47, v32                                // 000000009F80: 0A40402F
	v_mul_f32_e32 v33, s47, v33                                // 000000009F84: 0A42422F
	v_cvt_pkrtz_f16_f32 v65, v32, v33                          // 000000009F88: D2960041 00024320
	v_accvgpr_read_b32 v32, a140                               // 000000009F90: D3D84020 1800018C
	v_accvgpr_read_b32 v33, a141                               // 000000009F98: D3D84021 1800018D
	v_mul_f32_e32 v32, s47, v32                                // 000000009FA0: 0A40402F
	v_mul_f32_e32 v33, s47, v33                                // 000000009FA4: 0A42422F
	v_cvt_pkrtz_f16_f32 v66, v32, v33                          // 000000009FA8: D2960042 00024320
	v_accvgpr_read_b32 v32, a142                               // 000000009FB0: D3D84020 1800018E
	v_accvgpr_read_b32 v33, a143                               // 000000009FB8: D3D84021 1800018F
	v_mul_f32_e32 v32, s47, v32                                // 000000009FC0: 0A40402F
	v_mul_f32_e32 v33, s47, v33                                // 000000009FC4: 0A42422F
	v_cvt_pkrtz_f16_f32 v67, v32, v33                          // 000000009FC8: D2960043 00024320
	ds_write_b64 v27, v[60:61] offset:8704                     // 000000009FD0: D89A2200 00003C1B
	ds_write_b64 v27, v[62:63] offset:9248                     // 000000009FD8: D89A2420 00003E1B
	ds_write_b64 v27, v[64:65] offset:9792                     // 000000009FE0: D89A2640 0000401B
	ds_write_b64 v27, v[66:67] offset:10336                    // 000000009FE8: D89A2860 0000421B
	s_waitcnt lgkmcnt(0)                                       // 000000009FF0: BF8CC07F
	s_barrier                                                  // 000000009FF4: BF8A0000
	ds_read_b64 v[60:61], v26 offset:8704                      // 000000009FF8: D8EC2200 3C00001A
	ds_read_b64 v[62:63], v26 offset:8832                      // 00000000A000: D8EC2280 3E00001A
	ds_read_b64 v[64:65], v26 offset:8768                      // 00000000A008: D8EC2240 4000001A
	ds_read_b64 v[66:67], v26 offset:8896                      // 00000000A010: D8EC22C0 4200001A
	s_waitcnt lgkmcnt(0)                                       // 00000000A018: BF8CC07F
	s_mov_b32 s70, s52                                         // 00000000A01C: BEC60034
	buffer_store_dwordx4 v[60:63], v5, s[36:39], 0 idxen       // 00000000A020: E07C2000 80093C05
	s_mul_i32 s60, 2, s70                                      // 00000000A028: 923C4682
	v_add_u32_e32 v5, s60, v5                                  // 00000000A02C: 680A0A3C
	buffer_store_dwordx4 v[64:67], v5, s[36:39], 0 idxen       // 00000000A030: E07C2000 80094005
	s_mul_i32 s60, 2, s70                                      // 00000000A038: 923C4682
	v_add_u32_e32 v5, s60, v5                                  // 00000000A03C: 680A0A3C
	s_mul_i32 s60, 12, s70                                     // 00000000A040: 923C468C
	v_add_u32_e32 v5, s60, v5                                  // 00000000A044: 680A0A3C
	s_barrier                                                  // 00000000A048: BF8A0000
	s_cmp_ge_i32 2, s72                                        // 00000000A04C: BF034882
	s_cbranch_scc1 label_189A                                  // 00000000A050: BF850061
	v_accvgpr_read_b32 v32, a144                               // 00000000A054: D3D84020 18000190
	v_accvgpr_read_b32 v33, a145                               // 00000000A05C: D3D84021 18000191
	v_mul_f32_e32 v32, s47, v32                                // 00000000A064: 0A40402F
	v_mul_f32_e32 v33, s47, v33                                // 00000000A068: 0A42422F
	v_cvt_pkrtz_f16_f32 v68, v32, v33                          // 00000000A06C: D2960044 00024320
	v_accvgpr_read_b32 v32, a146                               // 00000000A074: D3D84020 18000192
	v_accvgpr_read_b32 v33, a147                               // 00000000A07C: D3D84021 18000193
	v_mul_f32_e32 v32, s47, v32                                // 00000000A084: 0A40402F
	v_mul_f32_e32 v33, s47, v33                                // 00000000A088: 0A42422F
	v_cvt_pkrtz_f16_f32 v69, v32, v33                          // 00000000A08C: D2960045 00024320
	v_accvgpr_read_b32 v32, a148                               // 00000000A094: D3D84020 18000194
	v_accvgpr_read_b32 v33, a149                               // 00000000A09C: D3D84021 18000195
	v_mul_f32_e32 v32, s47, v32                                // 00000000A0A4: 0A40402F
	v_mul_f32_e32 v33, s47, v33                                // 00000000A0A8: 0A42422F
	v_cvt_pkrtz_f16_f32 v70, v32, v33                          // 00000000A0AC: D2960046 00024320
	v_accvgpr_read_b32 v32, a150                               // 00000000A0B4: D3D84020 18000196
	v_accvgpr_read_b32 v33, a151                               // 00000000A0BC: D3D84021 18000197
	v_mul_f32_e32 v32, s47, v32                                // 00000000A0C4: 0A40402F
	v_mul_f32_e32 v33, s47, v33                                // 00000000A0C8: 0A42422F
	v_cvt_pkrtz_f16_f32 v71, v32, v33                          // 00000000A0CC: D2960047 00024320
	v_accvgpr_read_b32 v32, a152                               // 00000000A0D4: D3D84020 18000198
	v_accvgpr_read_b32 v33, a153                               // 00000000A0DC: D3D84021 18000199
	v_mul_f32_e32 v32, s47, v32                                // 00000000A0E4: 0A40402F
	v_mul_f32_e32 v33, s47, v33                                // 00000000A0E8: 0A42422F
	v_cvt_pkrtz_f16_f32 v72, v32, v33                          // 00000000A0EC: D2960048 00024320
	v_accvgpr_read_b32 v32, a154                               // 00000000A0F4: D3D84020 1800019A
	v_accvgpr_read_b32 v33, a155                               // 00000000A0FC: D3D84021 1800019B
	v_mul_f32_e32 v32, s47, v32                                // 00000000A104: 0A40402F
	v_mul_f32_e32 v33, s47, v33                                // 00000000A108: 0A42422F
	v_cvt_pkrtz_f16_f32 v73, v32, v33                          // 00000000A10C: D2960049 00024320
	v_accvgpr_read_b32 v32, a156                               // 00000000A114: D3D84020 1800019C
	v_accvgpr_read_b32 v33, a157                               // 00000000A11C: D3D84021 1800019D
	v_mul_f32_e32 v32, s47, v32                                // 00000000A124: 0A40402F
	v_mul_f32_e32 v33, s47, v33                                // 00000000A128: 0A42422F
	v_cvt_pkrtz_f16_f32 v74, v32, v33                          // 00000000A12C: D296004A 00024320
	v_accvgpr_read_b32 v32, a158                               // 00000000A134: D3D84020 1800019E
	v_accvgpr_read_b32 v33, a159                               // 00000000A13C: D3D84021 1800019F
	v_mul_f32_e32 v32, s47, v32                                // 00000000A144: 0A40402F
	v_mul_f32_e32 v33, s47, v33                                // 00000000A148: 0A42422F
	v_cvt_pkrtz_f16_f32 v75, v32, v33                          // 00000000A14C: D296004B 00024320
	ds_write_b64 v27, v[68:69] offset:17408                    // 00000000A154: D89A4400 0000441B
	ds_write_b64 v27, v[70:71] offset:17952                    // 00000000A15C: D89A4620 0000461B
	ds_write_b64 v27, v[72:73] offset:18496                    // 00000000A164: D89A4840 0000481B
	ds_write_b64 v27, v[74:75] offset:19040                    // 00000000A16C: D89A4A60 00004A1B
	s_waitcnt lgkmcnt(0)                                       // 00000000A174: BF8CC07F
	s_barrier                                                  // 00000000A178: BF8A0000
	ds_read_b64 v[68:69], v26 offset:17408                     // 00000000A17C: D8EC4400 4400001A
	ds_read_b64 v[70:71], v26 offset:17536                     // 00000000A184: D8EC4480 4600001A
	ds_read_b64 v[72:73], v26 offset:17472                     // 00000000A18C: D8EC4440 4800001A
	ds_read_b64 v[74:75], v26 offset:17600                     // 00000000A194: D8EC44C0 4A00001A
	s_waitcnt lgkmcnt(0)                                       // 00000000A19C: BF8CC07F
	s_mov_b32 s70, s52                                         // 00000000A1A0: BEC60034
	buffer_store_dwordx4 v[68:71], v5, s[36:39], 0 idxen       // 00000000A1A4: E07C2000 80094405
	s_mul_i32 s60, 2, s70                                      // 00000000A1AC: 923C4682
	v_add_u32_e32 v5, s60, v5                                  // 00000000A1B0: 680A0A3C
	buffer_store_dwordx4 v[72:75], v5, s[36:39], 0 idxen       // 00000000A1B4: E07C2000 80094805
	s_mul_i32 s60, 2, s70                                      // 00000000A1BC: 923C4682
	v_add_u32_e32 v5, s60, v5                                  // 00000000A1C0: 680A0A3C
	s_mul_i32 s60, 12, s70                                     // 00000000A1C4: 923C468C
	v_add_u32_e32 v5, s60, v5                                  // 00000000A1C8: 680A0A3C
	s_barrier                                                  // 00000000A1CC: BF8A0000
	s_cmp_ge_i32 3, s72                                        // 00000000A1D0: BF034883
	s_cbranch_scc1 label_189A                                  // 00000000A1D4: BF850000

000000000000a1d8 <label_189A>:
	v_mov_b32_e32 v32, v180                                    // 00000000A1D8: 7E4003B4
	v_mov_b32_e32 v33, v181                                    // 00000000A1DC: 7E4203B5
	v_cvt_pkrtz_f16_f32 v180, v32, v33                         // 00000000A1E0: D29600B4 00024320
	v_mov_b32_e32 v32, v182                                    // 00000000A1E8: 7E4003B6
	v_mov_b32_e32 v33, v183                                    // 00000000A1EC: 7E4203B7
	v_cvt_pkrtz_f16_f32 v181, v32, v33                         // 00000000A1F0: D29600B5 00024320
	v_mov_b32_e32 v32, v184                                    // 00000000A1F8: 7E4003B8
	v_mov_b32_e32 v33, v185                                    // 00000000A1FC: 7E4203B9
	v_cvt_pkrtz_f16_f32 v182, v32, v33                         // 00000000A200: D29600B6 00024320
	v_mov_b32_e32 v32, v186                                    // 00000000A208: 7E4003BA
	v_mov_b32_e32 v33, v187                                    // 00000000A20C: 7E4203BB
	v_cvt_pkrtz_f16_f32 v183, v32, v33                         // 00000000A210: D29600B7 00024320
	v_mov_b32_e32 v32, v188                                    // 00000000A218: 7E4003BC
	v_mov_b32_e32 v33, v189                                    // 00000000A21C: 7E4203BD
	v_cvt_pkrtz_f16_f32 v184, v32, v33                         // 00000000A220: D29600B8 00024320
	v_mov_b32_e32 v32, v190                                    // 00000000A228: 7E4003BE
	v_mov_b32_e32 v33, v191                                    // 00000000A22C: 7E4203BF
	v_cvt_pkrtz_f16_f32 v185, v32, v33                         // 00000000A230: D29600B9 00024320
	v_mov_b32_e32 v32, v192                                    // 00000000A238: 7E4003C0
	v_mov_b32_e32 v33, v193                                    // 00000000A23C: 7E4203C1
	v_cvt_pkrtz_f16_f32 v186, v32, v33                         // 00000000A240: D29600BA 00024320
	v_mov_b32_e32 v32, v194                                    // 00000000A248: 7E4003C2
	v_mov_b32_e32 v33, v195                                    // 00000000A24C: 7E4203C3
	v_cvt_pkrtz_f16_f32 v187, v32, v33                         // 00000000A250: D29600BB 00024320
	ds_write_b64 v27, v[180:181]                               // 00000000A258: D89A0000 0000B41B
	ds_write_b64 v27, v[182:183] offset:544                    // 00000000A260: D89A0220 0000B61B
	ds_write_b64 v27, v[184:185] offset:1088                   // 00000000A268: D89A0440 0000B81B
	ds_write_b64 v27, v[186:187] offset:1632                   // 00000000A270: D89A0660 0000BA1B
	s_waitcnt lgkmcnt(0)                                       // 00000000A278: BF8CC07F
	s_barrier                                                  // 00000000A27C: BF8A0000
	ds_read_b64 v[180:181], v26                                // 00000000A280: D8EC0000 B400001A
	ds_read_b64 v[182:183], v26 offset:128                     // 00000000A288: D8EC0080 B600001A
	ds_read_b64 v[184:185], v26 offset:64                      // 00000000A290: D8EC0040 B800001A
	ds_read_b64 v[186:187], v26 offset:192                     // 00000000A298: D8EC00C0 BA00001A
	s_waitcnt lgkmcnt(0)                                       // 00000000A2A0: BF8CC07F
	s_mov_b32 s70, s53                                         // 00000000A2A4: BEC60035
	buffer_store_dwordx4 v[180:183], v10, s[40:43], 0 idxen    // 00000000A2A8: E07C2000 800AB40A
	s_mul_i32 s60, 2, s70                                      // 00000000A2B0: 923C4682
	v_add_u32_e32 v10, s60, v10                                // 00000000A2B4: 6814143C
	buffer_store_dwordx4 v[184:187], v10, s[40:43], 0 idxen    // 00000000A2B8: E07C2000 800AB80A
	s_mul_i32 s60, 2, s70                                      // 00000000A2C0: 923C4682
	v_add_u32_e32 v10, s60, v10                                // 00000000A2C4: 6814143C
	s_mul_i32 s60, 12, s70                                     // 00000000A2C8: 923C468C
	v_add_u32_e32 v10, s60, v10                                // 00000000A2CC: 6814143C
	s_cmp_ge_i32 1, s72                                        // 00000000A2D0: BF034881
	s_cbranch_scc1 label_195A                                  // 00000000A2D4: BF850080
	v_mov_b32_e32 v32, v196                                    // 00000000A2D8: 7E4003C4
	v_mov_b32_e32 v33, v197                                    // 00000000A2DC: 7E4203C5
	v_cvt_pkrtz_f16_f32 v188, v32, v33                         // 00000000A2E0: D29600BC 00024320
	v_mov_b32_e32 v32, v198                                    // 00000000A2E8: 7E4003C6
	v_mov_b32_e32 v33, v199                                    // 00000000A2EC: 7E4203C7
	v_cvt_pkrtz_f16_f32 v189, v32, v33                         // 00000000A2F0: D29600BD 00024320
	v_mov_b32_e32 v32, v200                                    // 00000000A2F8: 7E4003C8
	v_mov_b32_e32 v33, v201                                    // 00000000A2FC: 7E4203C9
	v_cvt_pkrtz_f16_f32 v190, v32, v33                         // 00000000A300: D29600BE 00024320
	v_mov_b32_e32 v32, v202                                    // 00000000A308: 7E4003CA
	v_mov_b32_e32 v33, v203                                    // 00000000A30C: 7E4203CB
	v_cvt_pkrtz_f16_f32 v191, v32, v33                         // 00000000A310: D29600BF 00024320
	v_mov_b32_e32 v32, v204                                    // 00000000A318: 7E4003CC
	v_mov_b32_e32 v33, v205                                    // 00000000A31C: 7E4203CD
	v_cvt_pkrtz_f16_f32 v192, v32, v33                         // 00000000A320: D29600C0 00024320
	v_mov_b32_e32 v32, v206                                    // 00000000A328: 7E4003CE
	v_mov_b32_e32 v33, v207                                    // 00000000A32C: 7E4203CF
	v_cvt_pkrtz_f16_f32 v193, v32, v33                         // 00000000A330: D29600C1 00024320
	v_mov_b32_e32 v32, v208                                    // 00000000A338: 7E4003D0
	v_mov_b32_e32 v33, v209                                    // 00000000A33C: 7E4203D1
	v_cvt_pkrtz_f16_f32 v194, v32, v33                         // 00000000A340: D29600C2 00024320
	v_mov_b32_e32 v32, v210                                    // 00000000A348: 7E4003D2
	v_mov_b32_e32 v33, v211                                    // 00000000A34C: 7E4203D3
	v_cvt_pkrtz_f16_f32 v195, v32, v33                         // 00000000A350: D29600C3 00024320
	ds_write_b64 v27, v[188:189] offset:8704                   // 00000000A358: D89A2200 0000BC1B
	ds_write_b64 v27, v[190:191] offset:9248                   // 00000000A360: D89A2420 0000BE1B
	ds_write_b64 v27, v[192:193] offset:9792                   // 00000000A368: D89A2640 0000C01B
	ds_write_b64 v27, v[194:195] offset:10336                  // 00000000A370: D89A2860 0000C21B
	s_waitcnt lgkmcnt(0)                                       // 00000000A378: BF8CC07F
	s_barrier                                                  // 00000000A37C: BF8A0000
	ds_read_b64 v[188:189], v26 offset:8704                    // 00000000A380: D8EC2200 BC00001A
	ds_read_b64 v[190:191], v26 offset:8832                    // 00000000A388: D8EC2280 BE00001A
	ds_read_b64 v[192:193], v26 offset:8768                    // 00000000A390: D8EC2240 C000001A
	ds_read_b64 v[194:195], v26 offset:8896                    // 00000000A398: D8EC22C0 C200001A
	s_waitcnt lgkmcnt(0)                                       // 00000000A3A0: BF8CC07F
	s_mov_b32 s70, s53                                         // 00000000A3A4: BEC60035
	buffer_store_dwordx4 v[188:191], v10, s[40:43], 0 idxen    // 00000000A3A8: E07C2000 800ABC0A
	s_mul_i32 s60, 2, s70                                      // 00000000A3B0: 923C4682
	v_add_u32_e32 v10, s60, v10                                // 00000000A3B4: 6814143C
	buffer_store_dwordx4 v[192:195], v10, s[40:43], 0 idxen    // 00000000A3B8: E07C2000 800AC00A
	s_mul_i32 s60, 2, s70                                      // 00000000A3C0: 923C4682
	v_add_u32_e32 v10, s60, v10                                // 00000000A3C4: 6814143C
	s_mul_i32 s60, 12, s70                                     // 00000000A3C8: 923C468C
	v_add_u32_e32 v10, s60, v10                                // 00000000A3CC: 6814143C
	s_cmp_ge_i32 2, s72                                        // 00000000A3D0: BF034882
	s_cbranch_scc1 label_195A                                  // 00000000A3D4: BF850040
	v_mov_b32_e32 v32, v212                                    // 00000000A3D8: 7E4003D4
	v_mov_b32_e32 v33, v213                                    // 00000000A3DC: 7E4203D5
	v_cvt_pkrtz_f16_f32 v196, v32, v33                         // 00000000A3E0: D29600C4 00024320
	v_mov_b32_e32 v32, v214                                    // 00000000A3E8: 7E4003D6
	v_mov_b32_e32 v33, v215                                    // 00000000A3EC: 7E4203D7
	v_cvt_pkrtz_f16_f32 v197, v32, v33                         // 00000000A3F0: D29600C5 00024320
	v_mov_b32_e32 v32, v216                                    // 00000000A3F8: 7E4003D8
	v_mov_b32_e32 v33, v217                                    // 00000000A3FC: 7E4203D9
	v_cvt_pkrtz_f16_f32 v198, v32, v33                         // 00000000A400: D29600C6 00024320
	v_mov_b32_e32 v32, v218                                    // 00000000A408: 7E4003DA
	v_mov_b32_e32 v33, v219                                    // 00000000A40C: 7E4203DB
	v_cvt_pkrtz_f16_f32 v199, v32, v33                         // 00000000A410: D29600C7 00024320
	v_mov_b32_e32 v32, v220                                    // 00000000A418: 7E4003DC
	v_mov_b32_e32 v33, v221                                    // 00000000A41C: 7E4203DD
	v_cvt_pkrtz_f16_f32 v200, v32, v33                         // 00000000A420: D29600C8 00024320
	v_mov_b32_e32 v32, v222                                    // 00000000A428: 7E4003DE
	v_mov_b32_e32 v33, v223                                    // 00000000A42C: 7E4203DF
	v_cvt_pkrtz_f16_f32 v201, v32, v33                         // 00000000A430: D29600C9 00024320
	v_mov_b32_e32 v32, v224                                    // 00000000A438: 7E4003E0
	v_mov_b32_e32 v33, v225                                    // 00000000A43C: 7E4203E1
	v_cvt_pkrtz_f16_f32 v202, v32, v33                         // 00000000A440: D29600CA 00024320
	v_mov_b32_e32 v32, v226                                    // 00000000A448: 7E4003E2
	v_mov_b32_e32 v33, v227                                    // 00000000A44C: 7E4203E3
	v_cvt_pkrtz_f16_f32 v203, v32, v33                         // 00000000A450: D29600CB 00024320
	ds_write_b64 v27, v[196:197] offset:17408                  // 00000000A458: D89A4400 0000C41B
	ds_write_b64 v27, v[198:199] offset:17952                  // 00000000A460: D89A4620 0000C61B
	ds_write_b64 v27, v[200:201] offset:18496                  // 00000000A468: D89A4840 0000C81B
	ds_write_b64 v27, v[202:203] offset:19040                  // 00000000A470: D89A4A60 0000CA1B
	s_waitcnt lgkmcnt(0)                                       // 00000000A478: BF8CC07F
	s_barrier                                                  // 00000000A47C: BF8A0000
	ds_read_b64 v[196:197], v26 offset:17408                   // 00000000A480: D8EC4400 C400001A
	ds_read_b64 v[198:199], v26 offset:17536                   // 00000000A488: D8EC4480 C600001A
	ds_read_b64 v[200:201], v26 offset:17472                   // 00000000A490: D8EC4440 C800001A
	ds_read_b64 v[202:203], v26 offset:17600                   // 00000000A498: D8EC44C0 CA00001A
	s_waitcnt lgkmcnt(0)                                       // 00000000A4A0: BF8CC07F
	s_mov_b32 s70, s53                                         // 00000000A4A4: BEC60035
	buffer_store_dwordx4 v[196:199], v10, s[40:43], 0 idxen    // 00000000A4A8: E07C2000 800AC40A
	s_mul_i32 s60, 2, s70                                      // 00000000A4B0: 923C4682
	v_add_u32_e32 v10, s60, v10                                // 00000000A4B4: 6814143C
	buffer_store_dwordx4 v[200:203], v10, s[40:43], 0 idxen    // 00000000A4B8: E07C2000 800AC80A
	s_mul_i32 s60, 2, s70                                      // 00000000A4C0: 923C4682
	v_add_u32_e32 v10, s60, v10                                // 00000000A4C4: 6814143C
	s_mul_i32 s60, 12, s70                                     // 00000000A4C8: 923C468C
	v_add_u32_e32 v10, s60, v10                                // 00000000A4CC: 6814143C
	s_cmp_ge_i32 3, s72                                        // 00000000A4D0: BF034883
	s_cbranch_scc1 label_195A                                  // 00000000A4D4: BF850000

000000000000a4d8 <label_195A>:
	s_waitcnt vmcnt(0) expcnt(0) lgkmcnt(0)                    // 00000000A4D8: BF8C0000
	s_sub_i32 s60, s77, 1                                      // 00000000A4DC: 81BC814D
	s_sub_i32 s2, s60, s2                                      // 00000000A4E0: 8182023C
	s_addk_i32 s75, 0x1                                        // 00000000A4E4: B74B0001
	s_cmp_lt_i32 s75, s76                                      // 00000000A4E8: BF044C4B
	s_cbranch_scc1 label_015D                                  // 00000000A4EC: BF85E821

000000000000a4f0 <label_1960>:
	s_waitcnt vmcnt(0) expcnt(0) lgkmcnt(0)                    // 00000000A4F0: BF8C0000
	s_endpgm                                                   // 00000000A4F4: BF810000
